;; amdgpu-corpus repo=ROCm/rocFFT kind=compiled arch=gfx1201 opt=O3
	.text
	.amdgcn_target "amdgcn-amd-amdhsa--gfx1201"
	.amdhsa_code_object_version 6
	.protected	bluestein_single_back_len117_dim1_dp_op_CI_CI ; -- Begin function bluestein_single_back_len117_dim1_dp_op_CI_CI
	.globl	bluestein_single_back_len117_dim1_dp_op_CI_CI
	.p2align	8
	.type	bluestein_single_back_len117_dim1_dp_op_CI_CI,@function
bluestein_single_back_len117_dim1_dp_op_CI_CI: ; @bluestein_single_back_len117_dim1_dp_op_CI_CI
; %bb.0:
	s_load_b128 s[8:11], s[0:1], 0x28
	v_mul_u32_u24_e32 v1, 0x13b2, v0
	v_mov_b32_e32 v85, 0
	s_mov_b32 s2, exec_lo
	s_delay_alu instid0(VALU_DEP_2) | instskip(NEXT) | instid1(VALU_DEP_1)
	v_lshrrev_b32_e32 v1, 16, v1
	v_lshl_add_u32 v84, ttmp9, 2, v1
	s_wait_kmcnt 0x0
	s_delay_alu instid0(VALU_DEP_1)
	v_cmpx_gt_u64_e64 s[8:9], v[84:85]
	s_cbranch_execz .LBB0_15
; %bb.1:
	v_mul_lo_u16 v2, v1, 13
	s_clause 0x1
	s_load_b64 s[8:9], s[0:1], 0x0
	s_load_b64 s[12:13], s[0:1], 0x38
	v_and_b32_e32 v1, 3, v1
	v_sub_nc_u16 v0, v0, v2
	s_delay_alu instid0(VALU_DEP_2) | instskip(NEXT) | instid1(VALU_DEP_2)
	v_mul_u32_u24_e32 v215, 0x75, v1
	v_and_b32_e32 v214, 0xffff, v0
	v_cmp_gt_u16_e32 vcc_lo, 9, v0
	s_delay_alu instid0(VALU_DEP_3) | instskip(NEXT) | instid1(VALU_DEP_3)
	v_lshlrev_b32_e32 v216, 4, v215
	v_lshlrev_b32_e32 v213, 4, v214
	s_and_saveexec_b32 s3, vcc_lo
	s_cbranch_execz .LBB0_3
; %bb.2:
	s_load_b64 s[4:5], s[0:1], 0x18
	s_wait_kmcnt 0x0
	s_load_b128 s[4:7], s[4:5], 0x0
	s_wait_kmcnt 0x0
	v_mad_co_u64_u32 v[16:17], null, s4, v214, 0
	v_mad_co_u64_u32 v[0:1], null, s6, v84, 0
	s_delay_alu instid0(VALU_DEP_2) | instskip(NEXT) | instid1(VALU_DEP_1)
	v_mov_b32_e32 v2, v17
	v_mad_co_u64_u32 v[3:4], null, s7, v84, v[1:2]
	s_delay_alu instid0(VALU_DEP_1) | instskip(SKIP_2) | instid1(VALU_DEP_2)
	v_mov_b32_e32 v1, v3
	v_mad_co_u64_u32 v[4:5], null, s5, v214, v[2:3]
	s_mul_u64 s[4:5], s[4:5], 0x90
	v_lshlrev_b64_e32 v[18:19], 4, v[0:1]
	s_delay_alu instid0(VALU_DEP_2)
	v_mov_b32_e32 v17, v4
	s_clause 0x3
	global_load_b128 v[0:3], v213, s[8:9]
	global_load_b128 v[4:7], v213, s[8:9] offset:144
	global_load_b128 v[8:11], v213, s[8:9] offset:288
	;; [unrolled: 1-line block ×3, first 2 shown]
	v_add_co_u32 v26, s2, s10, v18
	s_delay_alu instid0(VALU_DEP_1)
	v_add_co_ci_u32_e64 v27, s2, s11, v19, s2
	v_lshlrev_b64_e32 v[24:25], 4, v[16:17]
	s_clause 0x1
	global_load_b128 v[16:19], v213, s[8:9] offset:576
	global_load_b128 v[20:23], v213, s[8:9] offset:720
	v_add_co_u32 v40, s2, v26, v24
	s_wait_alu 0xf1ff
	v_add_co_ci_u32_e64 v41, s2, v27, v25, s2
	s_clause 0x1
	global_load_b128 v[24:27], v213, s[8:9] offset:864
	global_load_b128 v[28:31], v213, s[8:9] offset:1008
	s_wait_alu 0xfffe
	v_add_co_u32 v44, s2, v40, s4
	s_wait_alu 0xf1ff
	v_add_co_ci_u32_e64 v45, s2, s5, v41, s2
	s_clause 0x1
	global_load_b128 v[32:35], v213, s[8:9] offset:1152
	global_load_b128 v[36:39], v213, s[8:9] offset:1296
	v_add_co_u32 v48, s2, v44, s4
	s_wait_alu 0xf1ff
	v_add_co_ci_u32_e64 v49, s2, s5, v45, s2
	s_clause 0x1
	global_load_b128 v[40:43], v[40:41], off
	global_load_b128 v[44:47], v[44:45], off
	v_add_co_u32 v52, s2, v48, s4
	s_wait_alu 0xf1ff
	v_add_co_ci_u32_e64 v53, s2, s5, v49, s2
	s_delay_alu instid0(VALU_DEP_2) | instskip(SKIP_1) | instid1(VALU_DEP_2)
	v_add_co_u32 v56, s2, v52, s4
	s_wait_alu 0xf1ff
	v_add_co_ci_u32_e64 v57, s2, s5, v53, s2
	s_clause 0x1
	global_load_b128 v[48:51], v[48:49], off
	global_load_b128 v[52:55], v[52:53], off
	v_add_co_u32 v60, s2, v56, s4
	s_wait_alu 0xf1ff
	v_add_co_ci_u32_e64 v61, s2, s5, v57, s2
	global_load_b128 v[56:59], v[56:57], off
	v_add_co_u32 v64, s2, v60, s4
	s_wait_alu 0xf1ff
	v_add_co_ci_u32_e64 v65, s2, s5, v61, s2
	;; [unrolled: 4-line block ×8, first 2 shown]
	s_clause 0x1
	global_load_b128 v[85:88], v213, s[8:9] offset:1440
	global_load_b128 v[89:92], v213, s[8:9] offset:1584
	global_load_b128 v[93:96], v[93:94], off
	global_load_b128 v[97:100], v213, s[8:9] offset:1728
	global_load_b128 v[101:104], v[101:102], off
	s_wait_loadcnt 0xf
	v_mul_f64_e32 v[105:106], v[42:43], v[2:3]
	v_mul_f64_e32 v[2:3], v[40:41], v[2:3]
	s_wait_loadcnt 0xe
	v_mul_f64_e32 v[107:108], v[46:47], v[6:7]
	v_mul_f64_e32 v[6:7], v[44:45], v[6:7]
	s_wait_loadcnt 0xd
	v_mul_f64_e32 v[109:110], v[50:51], v[10:11]
	v_mul_f64_e32 v[10:11], v[48:49], v[10:11]
	s_wait_loadcnt 0xc
	v_mul_f64_e32 v[111:112], v[54:55], v[14:15]
	v_mul_f64_e32 v[14:15], v[52:53], v[14:15]
	s_wait_loadcnt 0xb
	v_mul_f64_e32 v[113:114], v[58:59], v[18:19]
	v_mul_f64_e32 v[18:19], v[56:57], v[18:19]
	s_wait_loadcnt 0xa
	v_mul_f64_e32 v[115:116], v[62:63], v[22:23]
	v_mul_f64_e32 v[22:23], v[60:61], v[22:23]
	s_wait_loadcnt 0x9
	v_mul_f64_e32 v[117:118], v[66:67], v[26:27]
	v_mul_f64_e32 v[26:27], v[64:65], v[26:27]
	s_wait_loadcnt 0x8
	v_mul_f64_e32 v[119:120], v[70:71], v[30:31]
	v_mul_f64_e32 v[30:31], v[68:69], v[30:31]
	s_wait_loadcnt 0x7
	v_mul_f64_e32 v[121:122], v[74:75], v[34:35]
	v_mul_f64_e32 v[34:35], v[72:73], v[34:35]
	s_wait_loadcnt 0x6
	v_mul_f64_e32 v[123:124], v[78:79], v[38:39]
	v_mul_f64_e32 v[125:126], v[76:77], v[38:39]
	v_fma_f64 v[38:39], v[40:41], v[0:1], v[105:106]
	v_fma_f64 v[40:41], v[42:43], v[0:1], -v[2:3]
	v_fma_f64 v[0:1], v[44:45], v[4:5], v[107:108]
	v_fma_f64 v[2:3], v[46:47], v[4:5], -v[6:7]
	s_wait_loadcnt 0x4
	v_mul_f64_e32 v[127:128], v[82:83], v[87:88]
	v_mul_f64_e32 v[87:88], v[80:81], v[87:88]
	s_wait_loadcnt 0x2
	v_mul_f64_e32 v[129:130], v[95:96], v[91:92]
	v_mul_f64_e32 v[91:92], v[93:94], v[91:92]
	;; [unrolled: 3-line block ×3, first 2 shown]
	v_fma_f64 v[4:5], v[48:49], v[8:9], v[109:110]
	v_fma_f64 v[6:7], v[50:51], v[8:9], -v[10:11]
	v_fma_f64 v[8:9], v[52:53], v[12:13], v[111:112]
	v_fma_f64 v[10:11], v[54:55], v[12:13], -v[14:15]
	;; [unrolled: 2-line block ×8, first 2 shown]
	v_lshl_add_u32 v36, v214, 4, v216
	v_add_nc_u32_e32 v37, v216, v213
	v_fma_f64 v[42:43], v[80:81], v[85:86], v[127:128]
	v_fma_f64 v[44:45], v[82:83], v[85:86], -v[87:88]
	v_fma_f64 v[46:47], v[93:94], v[89:90], v[129:130]
	v_fma_f64 v[48:49], v[95:96], v[89:90], -v[91:92]
	;; [unrolled: 2-line block ×3, first 2 shown]
	ds_store_b128 v36, v[38:41]
	ds_store_b128 v37, v[0:3] offset:144
	ds_store_b128 v37, v[4:7] offset:288
	;; [unrolled: 1-line block ×12, first 2 shown]
.LBB0_3:
	s_or_b32 exec_lo, exec_lo, s3
	s_clause 0x1
	s_load_b64 s[2:3], s[0:1], 0x20
	s_load_b64 s[4:5], s[0:1], 0x8
	global_wb scope:SCOPE_SE
	s_wait_dscnt 0x0
	s_wait_kmcnt 0x0
	s_barrier_signal -1
	s_barrier_wait -1
	global_inv scope:SCOPE_SE
                                        ; implicit-def: $vgpr36_vgpr37
                                        ; implicit-def: $vgpr48_vgpr49
                                        ; implicit-def: $vgpr52_vgpr53
                                        ; implicit-def: $vgpr60_vgpr61
                                        ; implicit-def: $vgpr64_vgpr65
                                        ; implicit-def: $vgpr56_vgpr57
                                        ; implicit-def: $vgpr44_vgpr45
                                        ; implicit-def: $vgpr40_vgpr41
                                        ; implicit-def: $vgpr32_vgpr33
                                        ; implicit-def: $vgpr28_vgpr29
                                        ; implicit-def: $vgpr24_vgpr25
                                        ; implicit-def: $vgpr20_vgpr21
                                        ; implicit-def: $vgpr16_vgpr17
	s_and_saveexec_b32 s0, vcc_lo
	s_cbranch_execz .LBB0_5
; %bb.4:
	v_lshl_add_u32 v0, v215, 4, v213
	ds_load_b128 v[36:39], v0
	ds_load_b128 v[48:51], v0 offset:144
	ds_load_b128 v[52:55], v0 offset:288
	;; [unrolled: 1-line block ×12, first 2 shown]
.LBB0_5:
	s_wait_alu 0xfffe
	s_or_b32 exec_lo, exec_lo, s0
	s_wait_dscnt 0x0
	v_add_f64_e64 v[76:77], v[50:51], -v[18:19]
	v_add_f64_e64 v[72:73], v[48:49], -v[16:17]
	s_mov_b32 s0, 0x4267c47c
	s_mov_b32 s6, 0x42a4c3d2
	;; [unrolled: 1-line block ×8, first 2 shown]
	v_add_f64_e32 v[70:71], v[48:49], v[16:17]
	v_add_f64_e32 v[74:75], v[50:51], v[18:19]
	v_add_f64_e64 v[82:83], v[54:55], -v[22:23]
	v_add_f64_e64 v[68:69], v[52:53], -v[20:21]
	s_mov_b32 s20, 0xe00740e9
	s_mov_b32 s26, 0x1ea71119
	;; [unrolled: 1-line block ×12, first 2 shown]
	v_add_f64_e32 v[175:176], v[52:53], v[20:21]
	v_add_f64_e32 v[201:202], v[54:55], v[22:23]
	v_add_f64_e64 v[207:208], v[62:63], -v[26:27]
	v_add_f64_e64 v[191:192], v[60:61], -v[24:25]
	s_mov_b32 s30, 0x93053d00
	s_mov_b32 s36, 0xd0032e0c
	;; [unrolled: 1-line block ×6, first 2 shown]
	s_wait_alu 0xfffe
	s_mov_b32 s24, s0
	s_mov_b32 s22, s14
	v_mul_f64_e32 v[78:79], s[0:1], v[76:77]
	v_mul_f64_e32 v[80:81], s[0:1], v[72:73]
	;; [unrolled: 1-line block ×8, first 2 shown]
	v_add_f64_e32 v[163:164], v[60:61], v[24:25]
	v_add_f64_e32 v[205:206], v[62:63], v[26:27]
	v_add_f64_e64 v[89:90], v[64:65], -v[28:29]
	v_add_f64_e64 v[189:190], v[66:67], -v[30:31]
	v_mul_f64_e32 v[155:156], s[6:7], v[82:83]
	v_mul_f64_e32 v[161:162], s[6:7], v[68:69]
	;; [unrolled: 1-line block ×8, first 2 shown]
	v_add_f64_e32 v[115:116], v[64:65], v[28:29]
	v_add_f64_e32 v[195:196], v[66:67], v[30:31]
	v_add_f64_e64 v[87:88], v[56:57], -v[32:33]
	v_add_f64_e64 v[151:152], v[58:59], -v[34:35]
	s_mov_b32 s45, 0xbfe5384d
	s_mov_b32 s35, 0x3fefc445
	;; [unrolled: 1-line block ×4, first 2 shown]
	v_mul_f64_e32 v[153:154], s[10:11], v[207:208]
	v_mul_f64_e32 v[157:158], s[10:11], v[191:192]
	;; [unrolled: 1-line block ×8, first 2 shown]
	s_mov_b32 s34, s10
	s_mov_b32 s38, s28
	v_fma_f64 v[0:1], v[70:71], s[20:21], v[78:79]
	v_fma_f64 v[2:3], v[74:75], s[20:21], -v[80:81]
	v_fma_f64 v[4:5], v[70:71], s[26:27], v[95:96]
	v_fma_f64 v[6:7], v[74:75], s[26:27], -v[107:108]
	;; [unrolled: 2-line block ×4, first 2 shown]
	v_add_f64_e32 v[183:184], v[58:59], v[34:35]
	v_add_f64_e64 v[133:134], v[46:47], -v[42:43]
	v_mul_f64_e32 v[109:110], s[14:15], v[89:90]
	v_mul_f64_e32 v[101:102], s[14:15], v[189:190]
	v_fma_f64 v[85:86], v[175:176], s[26:27], v[155:156]
	v_fma_f64 v[91:92], v[201:202], s[26:27], -v[161:162]
	v_fma_f64 v[93:94], v[175:176], s[16:17], v[169:170]
	v_fma_f64 v[97:98], v[201:202], s[16:17], -v[181:182]
	v_fma_f64 v[99:100], v[175:176], s[30:31], v[171:172]
	v_fma_f64 v[103:104], v[201:202], s[30:31], -v[187:188]
	v_fma_f64 v[105:106], v[175:176], s[36:37], v[173:174]
	v_fma_f64 v[111:112], v[201:202], s[36:37], -v[193:194]
	v_mul_f64_e32 v[117:118], s[42:43], v[189:190]
	v_mul_f64_e32 v[123:124], s[42:43], v[89:90]
	;; [unrolled: 1-line block ×8, first 2 shown]
	v_fma_f64 v[113:114], v[163:164], s[18:19], v[153:154]
	v_fma_f64 v[121:122], v[205:206], s[18:19], -v[157:158]
	v_fma_f64 v[127:128], v[163:164], s[30:31], v[165:166]
	v_fma_f64 v[135:136], v[205:206], s[30:31], -v[167:168]
	v_fma_f64 v[145:146], v[163:164], s[16:17], v[177:178]
	v_mul_f64_e32 v[131:132], s[6:7], v[151:152]
	v_mul_f64_e32 v[139:140], s[6:7], v[87:88]
	;; [unrolled: 1-line block ×4, first 2 shown]
	s_mov_b32 s41, 0x3fea55e2
	v_add_f64_e32 v[0:1], v[36:37], v[0:1]
	v_add_f64_e32 v[2:3], v[38:39], v[2:3]
	;; [unrolled: 1-line block ×8, first 2 shown]
	s_mov_b32 s40, s6
	v_add_f64_e32 v[159:160], v[46:47], v[42:43]
	v_fma_f64 v[219:220], v[195:196], s[16:17], -v[109:110]
	v_fma_f64 v[217:218], v[115:116], s[16:17], v[101:102]
	global_wb scope:SCOPE_SE
	s_barrier_signal -1
	s_barrier_wait -1
	global_inv scope:SCOPE_SE
	v_fma_f64 v[221:222], v[115:116], s[36:37], v[117:118]
	v_fma_f64 v[223:224], v[195:196], s[36:37], -v[123:124]
	v_fma_f64 v[225:226], v[115:116], s[20:21], v[129:130]
	v_fma_f64 v[227:228], v[195:196], s[20:21], -v[137:138]
	;; [unrolled: 2-line block ×3, first 2 shown]
	v_add_f64_e32 v[0:1], v[85:86], v[0:1]
	v_add_f64_e32 v[2:3], v[91:92], v[2:3]
	;; [unrolled: 1-line block ×3, first 2 shown]
	v_fma_f64 v[93:94], v[205:206], s[16:17], -v[179:180]
	v_add_f64_e32 v[6:7], v[97:98], v[6:7]
	v_fma_f64 v[97:98], v[163:164], s[20:21], v[185:186]
	v_add_f64_e32 v[8:9], v[99:100], v[8:9]
	v_fma_f64 v[99:100], v[205:206], s[20:21], -v[197:198]
	v_add_f64_e32 v[10:11], v[103:104], v[10:11]
	v_add_f64_e32 v[12:13], v[105:106], v[12:13]
	;; [unrolled: 1-line block ×4, first 2 shown]
	v_add_f64_e64 v[85:86], v[44:45], -v[40:41]
	v_mul_f64_e32 v[103:104], s[44:45], v[151:152]
	v_mul_f64_e32 v[111:112], s[44:45], v[87:88]
	v_mul_f64_e32 v[105:106], s[24:25], v[133:134]
	v_add_f64_e32 v[0:1], v[113:114], v[0:1]
	v_add_f64_e32 v[2:3], v[121:122], v[2:3]
	v_add_f64_e32 v[4:5], v[127:128], v[4:5]
	v_mul_f64_e32 v[121:122], s[44:45], v[133:134]
	v_add_f64_e32 v[6:7], v[135:136], v[6:7]
	v_mul_f64_e32 v[135:136], s[40:41], v[133:134]
	v_add_f64_e32 v[8:9], v[145:146], v[8:9]
	v_add_f64_e32 v[10:11], v[93:94], v[10:11]
	;; [unrolled: 1-line block ×5, first 2 shown]
	v_mul_f64_e32 v[93:94], s[28:29], v[133:134]
	v_mul_f64_e32 v[99:100], s[28:29], v[85:86]
	;; [unrolled: 1-line block ×5, first 2 shown]
	v_fma_f64 v[233:234], v[91:92], s[36:37], v[103:104]
	v_fma_f64 v[235:236], v[183:184], s[36:37], -v[111:112]
	v_fma_f64 v[237:238], v[91:92], s[18:19], v[119:120]
	v_add_f64_e32 v[0:1], v[217:218], v[0:1]
	v_fma_f64 v[217:218], v[183:184], s[18:19], -v[125:126]
	v_add_f64_e32 v[2:3], v[219:220], v[2:3]
	v_fma_f64 v[219:220], v[91:92], s[26:27], v[131:132]
	v_add_f64_e32 v[4:5], v[221:222], v[4:5]
	v_fma_f64 v[221:222], v[183:184], s[26:27], -v[139:140]
	v_add_f64_e32 v[6:7], v[223:224], v[6:7]
	;; [unrolled: 4-line block ×3, first 2 shown]
	v_add_f64_e32 v[12:13], v[229:230], v[12:13]
	v_add_f64_e32 v[14:15], v[231:232], v[14:15]
	v_fma_f64 v[227:228], v[97:98], s[30:31], v[93:94]
	v_fma_f64 v[229:230], v[159:160], s[30:31], -v[99:100]
	v_fma_f64 v[231:232], v[97:98], s[20:21], v[105:106]
	v_add_f64_e32 v[0:1], v[233:234], v[0:1]
	v_fma_f64 v[233:234], v[159:160], s[20:21], -v[113:114]
	v_add_f64_e32 v[2:3], v[235:236], v[2:3]
	v_fma_f64 v[235:236], v[97:98], s[36:37], v[121:122]
	v_add_f64_e32 v[4:5], v[237:238], v[4:5]
	v_fma_f64 v[237:238], v[159:160], s[36:37], -v[127:128]
	v_add_f64_e32 v[6:7], v[217:218], v[6:7]
	;; [unrolled: 4-line block ×3, first 2 shown]
	v_add_f64_e32 v[12:13], v[223:224], v[12:13]
	v_add_f64_e32 v[14:15], v[225:226], v[14:15]
	v_add_f64_e32 v[0:1], v[227:228], v[0:1]
	v_add_f64_e32 v[2:3], v[229:230], v[2:3]
	v_add_f64_e32 v[4:5], v[231:232], v[4:5]
	v_add_f64_e32 v[6:7], v[233:234], v[6:7]
	v_add_f64_e32 v[8:9], v[235:236], v[8:9]
	v_add_f64_e32 v[10:11], v[237:238], v[10:11]
	v_add_f64_e32 v[12:13], v[217:218], v[12:13]
	v_add_f64_e32 v[14:15], v[219:220], v[14:15]
	v_mul_lo_u16 v217, v214, 13
	s_and_saveexec_b32 s33, vcc_lo
	s_cbranch_execz .LBB0_7
; %bb.6:
	v_add_f64_e32 v[50:51], v[38:39], v[50:51]
	v_add_f64_e32 v[48:49], v[36:37], v[48:49]
	v_mul_f64_e32 v[218:219], s[18:19], v[70:71]
	v_mul_f64_e32 v[220:221], s[26:27], v[74:75]
	;; [unrolled: 1-line block ×15, first 2 shown]
	v_add_f64_e32 v[50:51], v[50:51], v[54:55]
	v_add_f64_e32 v[48:49], v[48:49], v[52:53]
	v_mul_f64_e32 v[52:53], s[30:31], v[74:75]
	v_mul_f64_e32 v[54:55], s[28:29], v[76:77]
	v_add_f64_e64 v[95:96], v[222:223], -v[95:96]
	v_add_f64_e64 v[78:79], v[224:225], -v[78:79]
	v_mul_f64_e32 v[222:223], s[30:31], v[175:176]
	v_mul_f64_e32 v[224:225], s[30:31], v[205:206]
	v_fma_f64 v[254:255], v[191:192], s[42:43], v[226:227]
	v_add_f64_e32 v[187:188], v[187:188], v[234:235]
	v_add_f64_e32 v[193:194], v[193:194], v[236:237]
	v_mul_f64_e32 v[236:237], s[26:27], v[195:196]
	v_add_f64_e32 v[197:198], v[197:198], v[232:233]
	v_mul_f64_e32 v[232:233], s[20:21], v[195:196]
	v_mul_f64_e32 v[234:235], s[18:19], v[115:116]
	v_add_f64_e32 v[123:124], v[123:124], v[252:253]
	v_add_f64_e64 v[117:118], v[250:251], -v[117:118]
	v_add_f64_e32 v[109:110], v[109:110], v[248:249]
	v_add_f64_e64 v[101:102], v[246:247], -v[101:102]
	v_add_f64_e32 v[50:51], v[50:51], v[62:63]
	v_add_f64_e32 v[48:49], v[48:49], v[60:61]
	v_mul_f64_e32 v[60:61], s[36:37], v[74:75]
	v_mul_f64_e32 v[62:63], s[44:45], v[76:77]
	;; [unrolled: 1-line block ×3, first 2 shown]
	v_fma_f64 v[238:239], v[72:73], s[38:39], v[52:53]
	v_fma_f64 v[240:241], v[70:71], s[30:31], v[54:55]
	;; [unrolled: 1-line block ×3, first 2 shown]
	v_fma_f64 v[54:55], v[70:71], s[30:31], -v[54:55]
	v_add_f64_e32 v[95:96], v[36:37], v[95:96]
	v_add_f64_e64 v[171:172], v[222:223], -v[171:172]
	v_add_f64_e32 v[167:168], v[167:168], v[224:225]
	v_mul_f64_e32 v[222:223], s[36:37], v[183:184]
	v_mul_f64_e32 v[224:225], s[30:31], v[183:184]
	v_add_f64_e32 v[137:138], v[137:138], v[232:233]
	v_add_f64_e64 v[143:144], v[234:235], -v[143:144]
	v_add_f64_e32 v[50:51], v[50:51], v[66:67]
	v_add_f64_e32 v[48:49], v[48:49], v[64:65]
	v_mul_f64_e32 v[64:65], s[16:17], v[74:75]
	v_mul_f64_e32 v[66:67], s[16:17], v[70:71]
	;; [unrolled: 1-line block ×3, first 2 shown]
	v_fma_f64 v[242:243], v[72:73], s[42:43], v[60:61]
	v_fma_f64 v[244:245], v[70:71], s[36:37], v[62:63]
	;; [unrolled: 1-line block ×3, first 2 shown]
	v_fma_f64 v[62:63], v[70:71], s[36:37], -v[62:63]
	v_add_f64_e32 v[70:71], v[203:204], v[76:77]
	v_add_f64_e64 v[72:73], v[218:219], -v[199:200]
	v_add_f64_e32 v[76:77], v[107:108], v[220:221]
	v_mul_f64_e32 v[218:219], s[26:27], v[201:202]
	v_mul_f64_e32 v[220:221], s[16:17], v[175:176]
	;; [unrolled: 1-line block ×3, first 2 shown]
	v_add_f64_e32 v[238:239], v[38:39], v[238:239]
	v_add_f64_e32 v[240:241], v[36:37], v[240:241]
	v_add_f64_e32 v[52:53], v[38:39], v[52:53]
	v_add_f64_e32 v[54:55], v[36:37], v[54:55]
	v_mul_f64_e32 v[107:108], s[16:17], v[163:164]
	v_mul_f64_e32 v[199:200], s[20:21], v[163:164]
	v_add_f64_e32 v[111:112], v[111:112], v[222:223]
	v_add_f64_e32 v[50:51], v[50:51], v[58:59]
	;; [unrolled: 1-line block ×3, first 2 shown]
	v_mul_f64_e32 v[56:57], s[20:21], v[201:202]
	v_mul_f64_e32 v[58:59], s[26:27], v[205:206]
	v_add_f64_e32 v[64:65], v[211:212], v[64:65]
	v_add_f64_e64 v[66:67], v[66:67], -v[209:210]
	v_add_f64_e32 v[74:75], v[80:81], v[74:75]
	v_mul_f64_e32 v[201:202], s[16:17], v[201:202]
	v_mul_f64_e32 v[80:81], s[36:37], v[175:176]
	;; [unrolled: 1-line block ×4, first 2 shown]
	v_add_f64_e32 v[242:243], v[38:39], v[242:243]
	v_add_f64_e32 v[244:245], v[36:37], v[244:245]
	;; [unrolled: 1-line block ×7, first 2 shown]
	v_add_f64_e64 v[169:170], v[220:221], -v[169:170]
	v_mul_f64_e32 v[207:208], s[6:7], v[207:208]
	v_add_f64_e32 v[161:162], v[161:162], v[218:219]
	v_add_f64_e32 v[179:180], v[179:180], v[203:204]
	v_add_f64_e64 v[107:108], v[107:108], -v[177:178]
	v_add_f64_e64 v[185:186], v[199:200], -v[185:186]
	v_mul_f64_e32 v[218:219], s[18:19], v[183:184]
	v_mul_f64_e32 v[199:200], s[26:27], v[183:184]
	;; [unrolled: 1-line block ×3, first 2 shown]
	v_add_f64_e32 v[46:47], v[50:51], v[46:47]
	v_add_f64_e32 v[44:45], v[48:49], v[44:45]
	v_mul_f64_e32 v[50:51], s[30:31], v[163:164]
	v_mul_f64_e32 v[48:49], s[18:19], v[205:206]
	v_add_f64_e32 v[64:65], v[38:39], v[64:65]
	v_add_f64_e32 v[66:67], v[36:37], v[66:67]
	;; [unrolled: 1-line block ×4, first 2 shown]
	v_fma_f64 v[74:75], v[68:69], s[0:1], v[56:57]
	v_fma_f64 v[78:79], v[191:192], s[44:45], v[226:227]
	;; [unrolled: 1-line block ×7, first 2 shown]
	v_add_f64_e32 v[181:182], v[181:182], v[201:202]
	v_add_f64_e64 v[80:81], v[80:81], -v[173:174]
	v_mul_f64_e32 v[205:206], s[18:19], v[163:164]
	v_add_f64_e64 v[155:156], v[211:212], -v[155:156]
	v_mul_f64_e32 v[201:202], s[30:31], v[195:196]
	v_mul_f64_e32 v[195:196], s[18:19], v[195:196]
	v_fma_f64 v[203:204], v[163:164], s[36:37], v[209:210]
	v_fma_f64 v[209:210], v[163:164], s[36:37], -v[209:210]
	v_mul_f64_e32 v[228:229], s[20:21], v[115:116]
	v_add_f64_e32 v[72:73], v[171:172], v[72:73]
	v_fma_f64 v[177:178], v[163:164], s[26:27], v[207:208]
	v_fma_f64 v[163:164], v[163:164], s[26:27], -v[207:208]
	v_mul_f64_e32 v[173:174], s[18:19], v[91:92]
	v_mul_f64_e32 v[211:212], s[26:27], v[91:92]
	;; [unrolled: 1-line block ×3, first 2 shown]
	v_add_f64_e32 v[139:140], v[139:140], v[199:200]
	v_add_f64_e32 v[125:126], v[125:126], v[218:219]
	v_add_f64_e64 v[103:104], v[220:221], -v[103:104]
	v_add_f64_e32 v[42:43], v[46:47], v[42:43]
	v_fma_f64 v[46:47], v[175:176], s[20:21], -v[230:231]
	v_add_f64_e32 v[40:41], v[44:45], v[40:41]
	v_fma_f64 v[44:45], v[175:176], s[20:21], v[230:231]
	v_fma_f64 v[230:231], v[175:176], s[18:19], v[82:83]
	v_fma_f64 v[82:83], v[175:176], s[18:19], -v[82:83]
	v_mul_f64_e32 v[175:176], s[40:41], v[189:190]
	v_add_f64_e64 v[50:51], v[50:51], -v[165:166]
	v_add_f64_e32 v[64:65], v[193:194], v[64:65]
	v_mul_f64_e32 v[189:190], s[38:39], v[189:190]
	v_add_f64_e32 v[52:53], v[56:57], v[52:53]
	v_add_f64_e32 v[74:75], v[74:75], v[238:239]
	;; [unrolled: 1-line block ×10, first 2 shown]
	v_add_f64_e64 v[153:154], v[205:206], -v[153:154]
	v_add_f64_e32 v[36:37], v[155:156], v[36:37]
	v_mul_f64_e32 v[56:57], s[14:15], v[151:152]
	v_fma_f64 v[155:156], v[89:90], s[6:7], v[236:237]
	v_fma_f64 v[169:170], v[89:90], s[40:41], v[236:237]
	v_add_f64_e32 v[149:150], v[149:150], v[195:196]
	v_add_f64_e64 v[129:130], v[228:229], -v[129:130]
	v_mul_f64_e32 v[205:206], s[20:21], v[97:98]
	v_mul_f64_e32 v[238:239], s[20:21], v[159:160]
	v_add_f64_e64 v[119:120], v[173:174], -v[119:120]
	v_add_f64_e64 v[131:132], v[211:212], -v[131:132]
	v_mul_f64_e32 v[95:96], s[26:27], v[97:98]
	v_add_f64_e64 v[141:142], v[207:208], -v[141:142]
	v_mul_f64_e32 v[165:166], s[30:31], v[97:98]
	v_mul_f64_e32 v[157:158], s[30:31], v[159:160]
	v_add_f64_e32 v[34:35], v[42:43], v[34:35]
	v_add_f64_e32 v[46:47], v[46:47], v[54:55]
	;; [unrolled: 1-line block ×4, first 2 shown]
	v_mul_f64_e32 v[240:241], s[16:17], v[183:184]
	v_add_f64_e32 v[62:63], v[82:83], v[62:63]
	v_add_f64_e32 v[82:83], v[230:231], v[244:245]
	v_mul_f64_e32 v[183:184], s[20:21], v[183:184]
	v_mul_f64_e32 v[40:41], s[24:25], v[151:152]
	v_fma_f64 v[161:162], v[115:116], s[26:27], v[175:176]
	v_fma_f64 v[171:172], v[115:116], s[26:27], -v[175:176]
	v_fma_f64 v[175:176], v[89:90], s[28:29], v[201:202]
	v_fma_f64 v[89:90], v[89:90], s[38:39], v[201:202]
	v_add_f64_e32 v[52:53], v[78:79], v[52:53]
	v_add_f64_e32 v[58:59], v[58:59], v[60:61]
	;; [unrolled: 1-line block ×8, first 2 shown]
	v_fma_f64 v[181:182], v[115:116], s[30:31], v[189:190]
	v_fma_f64 v[115:116], v[115:116], s[30:31], -v[189:190]
	v_add_f64_e32 v[74:75], v[254:255], v[74:75]
	v_add_f64_e32 v[72:73], v[226:227], v[80:81]
	;; [unrolled: 1-line block ×4, first 2 shown]
	v_mul_f64_e32 v[42:43], s[36:37], v[159:160]
	v_mul_f64_e32 v[78:79], s[14:15], v[133:134]
	;; [unrolled: 1-line block ×5, first 2 shown]
	v_add_f64_e64 v[105:106], v[205:206], -v[105:106]
	v_add_f64_e64 v[95:96], v[95:96], -v[135:136]
	v_add_f64_e32 v[99:100], v[99:100], v[157:158]
	v_add_f64_e64 v[93:94], v[165:166], -v[93:94]
	v_add_f64_e32 v[30:31], v[34:35], v[30:31]
	v_add_f64_e32 v[46:47], v[209:210], v[46:47]
	;; [unrolled: 1-line block ×4, first 2 shown]
	v_mul_f64_e32 v[34:35], s[34:35], v[133:134]
	v_add_f64_e32 v[62:63], v[163:164], v[62:63]
	v_add_f64_e32 v[76:77], v[177:178], v[82:83]
	v_fma_f64 v[80:81], v[87:88], s[22:23], v[240:241]
	v_fma_f64 v[82:83], v[91:92], s[16:17], v[56:57]
	;; [unrolled: 1-line block ×3, first 2 shown]
	v_fma_f64 v[56:57], v[91:92], s[16:17], -v[56:57]
	v_fma_f64 v[133:134], v[87:88], s[0:1], v[183:184]
	v_fma_f64 v[153:154], v[91:92], s[20:21], v[40:41]
	v_fma_f64 v[87:88], v[87:88], s[24:25], v[183:184]
	v_fma_f64 v[40:41], v[91:92], s[20:21], -v[40:41]
	v_add_f64_e32 v[91:92], v[147:148], v[224:225]
	v_add_f64_e32 v[58:59], v[89:90], v[58:59]
	v_add_f64_e32 v[60:61], v[149:150], v[60:61]
	v_add_f64_e32 v[64:65], v[137:138], v[64:65]
	v_add_f64_e32 v[68:69], v[123:124], v[68:69]
	v_add_f64_e32 v[50:51], v[117:118], v[50:51]
	v_add_f64_e32 v[70:71], v[129:130], v[70:71]
	v_mul_f64_e32 v[32:33], s[18:19], v[159:160]
	v_add_f64_e32 v[52:53], v[169:170], v[52:53]
	v_add_f64_e32 v[66:67], v[143:144], v[66:67]
	;; [unrolled: 1-line block ×6, first 2 shown]
	v_fma_f64 v[101:102], v[97:98], s[16:17], v[78:79]
	v_fma_f64 v[78:79], v[97:98], s[16:17], -v[78:79]
	v_add_f64_e32 v[42:43], v[127:128], v[42:43]
	v_add_f64_e64 v[54:55], v[54:55], -v[121:122]
	v_fma_f64 v[89:90], v[85:86], s[22:23], v[48:49]
	v_fma_f64 v[48:49], v[85:86], s[14:15], v[48:49]
	v_add_f64_e32 v[26:27], v[30:31], v[26:27]
	v_add_f64_e32 v[46:47], v[171:172], v[46:47]
	;; [unrolled: 1-line block ×4, first 2 shown]
	v_fma_f64 v[30:31], v[97:98], s[18:19], v[34:35]
	v_add_f64_e32 v[62:63], v[115:116], v[62:63]
	v_add_f64_e32 v[76:77], v[181:182], v[76:77]
	v_fma_f64 v[34:35], v[97:98], s[18:19], -v[34:35]
	v_add_f64_e32 v[97:98], v[113:114], v[238:239]
	v_add_f64_e32 v[50:51], v[119:120], v[50:51]
	v_fma_f64 v[28:29], v[85:86], s[10:11], v[32:33]
	v_fma_f64 v[32:33], v[85:86], s[34:35], v[32:33]
	v_add_f64_e32 v[85:86], v[145:146], v[151:152]
	v_add_f64_e32 v[52:53], v[107:108], v[52:53]
	;; [unrolled: 1-line block ×22, first 2 shown]
	v_and_b32_e32 v52, 0xffff, v217
	s_delay_alu instid0(VALU_DEP_1)
	v_add_lshl_u32 v52, v215, v52, 4
	v_add_f64_e32 v[24:25], v[34:35], v[46:47]
	v_add_f64_e32 v[34:35], v[85:86], v[58:59]
	;; [unrolled: 1-line block ×14, first 2 shown]
	ds_store_b128 v52, v[8:11] offset:160
	ds_store_b128 v52, v[4:7] offset:176
	;; [unrolled: 1-line block ×11, first 2 shown]
	ds_store_b128 v52, v[16:19]
	ds_store_b128 v52, v[0:3] offset:192
.LBB0_7:
	s_or_b32 exec_lo, exec_lo, s33
	v_lshlrev_b32_e32 v16, 7, v214
	s_load_b128 s[0:3], s[2:3], 0x0
	global_wb scope:SCOPE_SE
	s_wait_dscnt 0x0
	s_wait_kmcnt 0x0
	s_barrier_signal -1
	s_barrier_wait -1
	global_inv scope:SCOPE_SE
	s_clause 0x7
	global_load_b128 v[24:27], v16, s[4:5]
	global_load_b128 v[36:39], v16, s[4:5] offset:112
	global_load_b128 v[32:35], v16, s[4:5] offset:16
	;; [unrolled: 1-line block ×7, first 2 shown]
	v_add_lshl_u32 v90, v215, v214, 4
	ds_load_b128 v[48:51], v90 offset:208
	ds_load_b128 v[52:55], v90 offset:1664
	;; [unrolled: 1-line block ×7, first 2 shown]
	s_mov_b32 s7, 0x3fe491b7
	s_mov_b32 s6, 0x523c161c
	;; [unrolled: 1-line block ×8, first 2 shown]
	v_lshl_add_u32 v89, v214, 4, v216
	s_wait_loadcnt_dscnt 0x706
	v_mul_f64_e32 v[76:77], v[50:51], v[26:27]
	v_mul_f64_e32 v[78:79], v[48:49], v[26:27]
	s_wait_loadcnt_dscnt 0x605
	v_mul_f64_e32 v[80:81], v[54:55], v[38:39]
	v_mul_f64_e32 v[82:83], v[52:53], v[38:39]
	;; [unrolled: 3-line block ×3, first 2 shown]
	s_wait_loadcnt_dscnt 0x403
	v_mul_f64_e32 v[91:92], v[62:63], v[30:31]
	s_wait_loadcnt_dscnt 0x302
	v_mul_f64_e32 v[93:94], v[66:67], v[46:47]
	v_mul_f64_e32 v[95:96], v[60:61], v[30:31]
	;; [unrolled: 1-line block ×3, first 2 shown]
	s_wait_loadcnt_dscnt 0x201
	v_mul_f64_e32 v[99:100], v[70:71], v[42:43]
	v_mul_f64_e32 v[101:102], v[68:69], v[42:43]
	v_fma_f64 v[76:77], v[48:49], v[24:25], -v[76:77]
	v_fma_f64 v[78:79], v[50:51], v[24:25], v[78:79]
	v_fma_f64 v[52:53], v[52:53], v[36:37], -v[80:81]
	v_fma_f64 v[54:55], v[54:55], v[36:37], v[82:83]
	;; [unrolled: 2-line block ×3, first 2 shown]
	v_fma_f64 v[60:61], v[60:61], v[28:29], -v[91:92]
	v_fma_f64 v[64:65], v[64:65], v[44:45], -v[93:94]
	v_fma_f64 v[62:63], v[62:63], v[28:29], v[95:96]
	v_fma_f64 v[66:67], v[66:67], v[44:45], v[97:98]
	v_fma_f64 v[80:81], v[68:69], v[40:41], -v[99:100]
	v_fma_f64 v[82:83], v[70:71], v[40:41], v[101:102]
	ds_load_b128 v[48:51], v90 offset:1248
	ds_load_b128 v[68:71], v90
	s_wait_loadcnt_dscnt 0x102
	v_mul_f64_e32 v[85:86], v[74:75], v[22:23]
	v_mul_f64_e32 v[87:88], v[72:73], v[22:23]
	s_wait_loadcnt_dscnt 0x1
	v_mul_f64_e32 v[91:92], v[50:51], v[18:19]
	v_mul_f64_e32 v[93:94], v[48:49], v[18:19]
	v_add_f64_e64 v[95:96], v[76:77], -v[52:53]
	v_add_f64_e64 v[97:98], v[78:79], -v[54:55]
	v_add_f64_e32 v[52:53], v[76:77], v[52:53]
	v_add_f64_e32 v[54:55], v[78:79], v[54:55]
	;; [unrolled: 1-line block ×3, first 2 shown]
	v_add_f64_e64 v[78:79], v[60:61], -v[64:65]
	v_add_f64_e64 v[99:100], v[62:63], -v[66:67]
	v_add_f64_e32 v[101:102], v[56:57], v[80:81]
	v_add_f64_e32 v[103:104], v[58:59], v[82:83]
	;; [unrolled: 1-line block ×3, first 2 shown]
	v_add_f64_e64 v[56:57], v[56:57], -v[80:81]
	v_add_f64_e64 v[58:59], v[58:59], -v[82:83]
	v_fma_f64 v[72:73], v[72:73], v[20:21], -v[85:86]
	v_fma_f64 v[74:75], v[74:75], v[20:21], v[87:88]
	v_fma_f64 v[48:49], v[48:49], v[16:17], -v[91:92]
	v_fma_f64 v[50:51], v[50:51], v[16:17], v[93:94]
	s_wait_alu 0xfffe
	v_mul_f64_e32 v[80:81], s[6:7], v[95:96]
	v_mul_f64_e32 v[82:83], s[6:7], v[97:98]
	s_mov_b32 s7, 0xbfe491b7
	s_wait_dscnt 0x0
	v_fma_f64 v[85:86], v[52:53], s[10:11], v[68:69]
	v_fma_f64 v[87:88], v[54:55], s[10:11], v[70:71]
	;; [unrolled: 1-line block ×3, first 2 shown]
	v_mul_f64_e32 v[93:94], s[4:5], v[78:79]
	v_mul_f64_e32 v[107:108], s[4:5], v[99:100]
	v_fma_f64 v[109:110], v[101:102], s[10:11], v[68:69]
	v_fma_f64 v[111:112], v[103:104], s[10:11], v[70:71]
	;; [unrolled: 1-line block ×3, first 2 shown]
	s_wait_alu 0xfffe
	v_mul_f64_e32 v[115:116], s[6:7], v[99:100]
	v_mul_f64_e32 v[117:118], s[6:7], v[78:79]
	s_mov_b32 s10, 0x7e0b738b
	s_mov_b32 s11, 0x3fc63a1a
	v_add_f64_e32 v[123:124], v[101:102], v[52:53]
	v_add_f64_e32 v[125:126], v[103:104], v[54:55]
	;; [unrolled: 1-line block ×4, first 2 shown]
	v_add_f64_e64 v[48:49], v[72:73], -v[48:49]
	v_add_f64_e64 v[50:51], v[74:75], -v[50:51]
	v_fma_f64 v[72:73], v[56:57], s[4:5], v[80:81]
	v_fma_f64 v[74:75], v[58:59], s[4:5], v[82:83]
	s_wait_alu 0xfffe
	v_fma_f64 v[80:81], v[101:102], s[10:11], v[85:86]
	v_fma_f64 v[82:83], v[103:104], s[10:11], v[87:88]
	;; [unrolled: 1-line block ×3, first 2 shown]
	v_fma_f64 v[87:88], v[56:57], s[6:7], -v[93:94]
	v_fma_f64 v[91:92], v[58:59], s[6:7], -v[107:108]
	v_fma_f64 v[93:94], v[76:77], s[10:11], v[109:110]
	v_fma_f64 v[107:108], v[105:106], s[10:11], v[111:112]
	;; [unrolled: 1-line block ×5, first 2 shown]
	s_mov_b32 s4, 0xe8584cab
	s_mov_b32 s5, 0x3febb67a
	;; [unrolled: 1-line block ×3, first 2 shown]
	s_wait_alu 0xfffe
	s_mov_b32 s6, s4
	v_add_f64_e32 v[115:116], v[78:79], v[95:96]
	v_add_f64_e32 v[117:118], v[99:100], v[97:98]
	;; [unrolled: 1-line block ×4, first 2 shown]
	s_mov_b32 s10, 0x748a0bf8
	s_mov_b32 s11, 0x3fd5e3a8
	v_add_f64_e32 v[127:128], v[68:69], v[119:120]
	v_add_f64_e32 v[129:130], v[70:71], v[121:122]
	;; [unrolled: 1-line block ×4, first 2 shown]
	v_fma_f64 v[72:73], v[48:49], s[4:5], v[72:73]
	v_fma_f64 v[74:75], v[50:51], s[4:5], v[74:75]
	v_fma_f64 v[80:81], v[119:120], -0.5, v[80:81]
	v_fma_f64 v[82:83], v[121:122], -0.5, v[82:83]
	;; [unrolled: 1-line block ×3, first 2 shown]
	v_fma_f64 v[87:88], v[48:49], s[4:5], v[87:88]
	v_fma_f64 v[91:92], v[50:51], s[4:5], v[91:92]
	v_fma_f64 v[93:94], v[119:120], -0.5, v[93:94]
	v_fma_f64 v[107:108], v[121:122], -0.5, v[107:108]
	;; [unrolled: 1-line block ×3, first 2 shown]
	s_wait_alu 0xfffe
	v_fma_f64 v[50:51], v[50:51], s[6:7], v[111:112]
	v_fma_f64 v[48:49], v[48:49], s[6:7], v[113:114]
	v_add_f64_e64 v[111:112], v[115:116], -v[56:57]
	v_add_f64_e64 v[113:114], v[117:118], -v[58:59]
	v_fma_f64 v[115:116], v[131:132], -0.5, v[127:128]
	v_fma_f64 v[117:118], v[133:134], -0.5, v[129:130]
	v_add_f64_e32 v[60:61], v[60:61], v[123:124]
	v_add_f64_e32 v[62:63], v[62:63], v[125:126]
	v_fma_f64 v[78:79], v[78:79], s[10:11], v[72:73]
	v_fma_f64 v[72:73], v[99:100], s[10:11], v[74:75]
	;; [unrolled: 1-line block ×12, first 2 shown]
	v_mul_f64_e32 v[97:98], s[4:5], v[111:112]
	v_mul_f64_e32 v[99:100], s[4:5], v[113:114]
	v_add_f64_e32 v[48:49], v[64:65], v[60:61]
	v_add_f64_e32 v[50:51], v[66:67], v[62:63]
	v_fma_f64 v[60:61], v[113:114], s[4:5], v[115:116]
	v_fma_f64 v[62:63], v[111:112], s[6:7], v[117:118]
	v_add_f64_e32 v[52:53], v[72:73], v[74:75]
	v_add_f64_e32 v[64:65], v[87:88], v[82:83]
	v_add_f64_e64 v[66:67], v[54:55], -v[85:86]
	v_add_f64_e64 v[54:55], v[76:77], -v[78:79]
	v_add_f64_e32 v[56:57], v[93:94], v[80:81]
	v_add_f64_e64 v[58:59], v[91:92], -v[95:96]
	v_add_f64_e32 v[48:49], v[68:69], v[48:49]
	v_add_f64_e32 v[50:51], v[70:71], v[50:51]
	v_fma_f64 v[80:81], v[99:100], -2.0, v[60:61]
	v_fma_f64 v[82:83], v[97:98], 2.0, v[62:63]
	v_fma_f64 v[68:69], v[72:73], -2.0, v[52:53]
	v_fma_f64 v[72:73], v[87:88], -2.0, v[64:65]
	v_fma_f64 v[74:75], v[85:86], 2.0, v[66:67]
	v_fma_f64 v[70:71], v[78:79], 2.0, v[54:55]
	v_fma_f64 v[76:77], v[93:94], -2.0, v[56:57]
	v_fma_f64 v[78:79], v[95:96], 2.0, v[58:59]
	ds_store_b128 v89, v[48:51]
	ds_store_b128 v89, v[52:55] offset:208
	ds_store_b128 v89, v[56:59] offset:416
	;; [unrolled: 1-line block ×8, first 2 shown]
	global_wb scope:SCOPE_SE
	s_wait_dscnt 0x0
	s_barrier_signal -1
	s_barrier_wait -1
	global_inv scope:SCOPE_SE
	s_and_saveexec_b32 s6, vcc_lo
	s_cbranch_execz .LBB0_9
; %bb.8:
	s_add_nc_u64 s[4:5], s[8:9], 0x750
	s_clause 0xc
	global_load_b128 v[85:88], v213, s[8:9] offset:1872
	global_load_b128 v[91:94], v213, s[4:5] offset:144
	global_load_b128 v[95:98], v213, s[4:5] offset:288
	global_load_b128 v[99:102], v213, s[4:5] offset:432
	global_load_b128 v[103:106], v213, s[4:5] offset:576
	global_load_b128 v[107:110], v213, s[4:5] offset:720
	global_load_b128 v[111:114], v213, s[4:5] offset:864
	global_load_b128 v[115:118], v213, s[4:5] offset:1008
	global_load_b128 v[119:122], v213, s[4:5] offset:1152
	global_load_b128 v[123:126], v213, s[4:5] offset:1296
	global_load_b128 v[127:130], v213, s[4:5] offset:1440
	global_load_b128 v[131:134], v213, s[4:5] offset:1584
	global_load_b128 v[135:138], v213, s[4:5] offset:1728
	ds_load_b128 v[139:142], v89
	ds_load_b128 v[143:146], v89 offset:144
	ds_load_b128 v[147:150], v89 offset:288
	ds_load_b128 v[151:154], v89 offset:432
	ds_load_b128 v[155:158], v89 offset:576
	ds_load_b128 v[159:162], v89 offset:720
	ds_load_b128 v[163:166], v89 offset:864
	ds_load_b128 v[167:170], v89 offset:1008
	ds_load_b128 v[171:174], v89 offset:1152
	ds_load_b128 v[175:178], v89 offset:1296
	ds_load_b128 v[179:182], v89 offset:1440
	ds_load_b128 v[183:186], v89 offset:1584
	ds_load_b128 v[187:190], v89 offset:1728
	s_wait_loadcnt_dscnt 0xc0c
	v_mul_f64_e32 v[191:192], v[141:142], v[87:88]
	v_mul_f64_e32 v[87:88], v[139:140], v[87:88]
	s_wait_loadcnt_dscnt 0xb0b
	v_mul_f64_e32 v[193:194], v[145:146], v[93:94]
	v_mul_f64_e32 v[93:94], v[143:144], v[93:94]
	;; [unrolled: 3-line block ×13, first 2 shown]
	v_fma_f64 v[137:138], v[139:140], v[85:86], -v[191:192]
	v_fma_f64 v[139:140], v[141:142], v[85:86], v[87:88]
	v_fma_f64 v[85:86], v[143:144], v[91:92], -v[193:194]
	v_fma_f64 v[87:88], v[145:146], v[91:92], v[93:94]
	;; [unrolled: 2-line block ×13, first 2 shown]
	ds_store_b128 v89, v[137:140]
	ds_store_b128 v89, v[85:88] offset:144
	ds_store_b128 v89, v[91:94] offset:288
	;; [unrolled: 1-line block ×12, first 2 shown]
.LBB0_9:
	s_wait_alu 0xfffe
	s_or_b32 exec_lo, exec_lo, s6
	global_wb scope:SCOPE_SE
	s_wait_dscnt 0x0
	s_barrier_signal -1
	s_barrier_wait -1
	global_inv scope:SCOPE_SE
	s_and_saveexec_b32 s4, vcc_lo
	s_cbranch_execz .LBB0_11
; %bb.10:
	ds_load_b128 v[48:51], v89
	ds_load_b128 v[52:55], v89 offset:144
	ds_load_b128 v[56:59], v89 offset:288
	;; [unrolled: 1-line block ×12, first 2 shown]
.LBB0_11:
	s_wait_alu 0xfffe
	s_or_b32 exec_lo, exec_lo, s4
	global_wb scope:SCOPE_SE
	s_wait_dscnt 0x0
	s_barrier_signal -1
	s_barrier_wait -1
	global_inv scope:SCOPE_SE
	s_and_saveexec_b32 s33, vcc_lo
	s_cbranch_execz .LBB0_13
; %bb.12:
	v_add_f64_e32 v[85:86], v[50:51], v[54:55]
	v_add_f64_e32 v[87:88], v[48:49], v[52:53]
	v_add_f64_e64 v[103:104], v[64:65], -v[12:13]
	v_add_f64_e32 v[107:108], v[62:63], v[10:11]
	v_add_f64_e64 v[105:106], v[62:63], -v[10:11]
	;; [unrolled: 2-line block ×3, first 2 shown]
	v_add_f64_e64 v[113:114], v[58:59], -v[6:7]
	v_add_f64_e32 v[115:116], v[58:59], v[6:7]
	v_add_f64_e32 v[117:118], v[56:57], v[4:5]
	s_mov_b32 s37, 0x3fddbe06
	s_mov_b32 s36, 0x4267c47c
	;; [unrolled: 1-line block ×14, first 2 shown]
	s_wait_alu 0xfffe
	s_mov_b32 s26, s34
	s_mov_b32 s24, s30
	;; [unrolled: 1-line block ×14, first 2 shown]
	v_add_f64_e32 v[85:86], v[85:86], v[58:59]
	v_add_f64_e32 v[87:88], v[87:88], v[56:57]
	v_mul_f64_e32 v[95:96], s[36:37], v[103:104]
	s_mov_b32 s39, 0x3fe5384d
	s_mov_b32 s38, s6
	s_delay_alu instid0(VALU_DEP_3) | instskip(NEXT) | instid1(VALU_DEP_3)
	v_add_f64_e32 v[85:86], v[85:86], v[62:63]
	v_add_f64_e32 v[87:88], v[87:88], v[60:61]
	s_delay_alu instid0(VALU_DEP_2) | instskip(NEXT) | instid1(VALU_DEP_2)
	v_add_f64_e32 v[85:86], v[85:86], v[66:67]
	v_add_f64_e32 v[87:88], v[87:88], v[64:65]
	;; [unrolled: 1-line block ×3, first 2 shown]
	s_delay_alu instid0(VALU_DEP_3) | instskip(NEXT) | instid1(VALU_DEP_3)
	v_add_f64_e32 v[85:86], v[85:86], v[74:75]
	v_add_f64_e32 v[87:88], v[87:88], v[72:73]
	s_delay_alu instid0(VALU_DEP_2) | instskip(NEXT) | instid1(VALU_DEP_2)
	v_add_f64_e32 v[91:92], v[85:86], v[82:83]
	v_add_f64_e32 v[93:94], v[87:88], v[80:81]
	v_add_f64_e64 v[87:88], v[80:81], -v[76:77]
	v_add_f64_e32 v[80:81], v[80:81], v[76:77]
	v_add_f64_e32 v[85:86], v[82:83], v[78:79]
	v_add_f64_e64 v[82:83], v[82:83], -v[78:79]
	v_add_f64_e32 v[91:92], v[91:92], v[78:79]
	v_add_f64_e32 v[93:94], v[93:94], v[76:77]
	;; [unrolled: 1-line block ×3, first 2 shown]
	v_add_f64_e64 v[74:75], v[74:75], -v[70:71]
	v_add_f64_e64 v[78:79], v[72:73], -v[68:69]
	v_add_f64_e32 v[72:73], v[72:73], v[68:69]
	v_mul_f64_e32 v[99:100], s[36:37], v[87:88]
	v_mul_f64_e32 v[101:102], s[36:37], v[82:83]
	;; [unrolled: 1-line block ×6, first 2 shown]
	v_add_f64_e32 v[70:71], v[91:92], v[70:71]
	v_add_f64_e32 v[91:92], v[93:94], v[68:69]
	;; [unrolled: 1-line block ×3, first 2 shown]
	v_add_f64_e64 v[66:67], v[66:67], -v[14:15]
	v_mul_f64_e32 v[56:57], s[36:37], v[78:79]
	v_mul_f64_e32 v[58:59], s[36:37], v[74:75]
	;; [unrolled: 1-line block ×3, first 2 shown]
	v_add_f64_e32 v[14:15], v[70:71], v[14:15]
	v_add_f64_e32 v[12:13], v[91:92], v[12:13]
	v_add_f64_e64 v[70:71], v[60:61], -v[8:9]
	v_mul_f64_e32 v[97:98], s[36:37], v[66:67]
	s_delay_alu instid0(VALU_DEP_4) | instskip(NEXT) | instid1(VALU_DEP_4)
	v_add_f64_e32 v[10:11], v[14:15], v[10:11]
	v_add_f64_e32 v[8:9], v[12:13], v[8:9]
	;; [unrolled: 1-line block ×4, first 2 shown]
	v_mul_f64_e32 v[91:92], s[36:37], v[70:71]
	v_add_f64_e32 v[6:7], v[10:11], v[6:7]
	v_add_f64_e32 v[4:5], v[8:9], v[4:5]
	v_add_f64_e64 v[8:9], v[52:53], -v[0:1]
	v_add_f64_e64 v[10:11], v[54:55], -v[2:3]
	v_mul_f64_e32 v[52:53], s[36:37], v[111:112]
	v_mul_f64_e32 v[54:55], s[36:37], v[113:114]
	s_mov_b32 s37, 0xbfddbe06
	v_add_f64_e32 v[2:3], v[6:7], v[2:3]
	v_add_f64_e32 v[0:1], v[4:5], v[0:1]
	v_mul_f64_e32 v[4:5], s[4:5], v[8:9]
	v_mul_f64_e32 v[6:7], s[6:7], v[8:9]
	;; [unrolled: 1-line block ×3, first 2 shown]
	s_wait_alu 0xfffe
	v_mul_f64_e32 v[62:63], s[24:25], v[8:9]
	v_mul_f64_e32 v[119:120], s[26:27], v[8:9]
	;; [unrolled: 1-line block ×7, first 2 shown]
	v_fma_f64 v[121:122], v[12:13], s[14:15], v[4:5]
	v_fma_f64 v[4:5], v[12:13], s[14:15], -v[4:5]
	v_fma_f64 v[123:124], v[12:13], s[16:17], v[6:7]
	v_fma_f64 v[6:7], v[12:13], s[16:17], -v[6:7]
	;; [unrolled: 2-line block ×6, first 2 shown]
	v_mul_f64_e32 v[12:13], s[4:5], v[10:11]
	v_mul_f64_e32 v[10:11], s[36:37], v[10:11]
	v_fma_f64 v[147:148], v[14:15], s[20:21], -v[137:138]
	v_fma_f64 v[137:138], v[14:15], s[20:21], v[137:138]
	v_fma_f64 v[149:150], v[14:15], s[22:23], -v[139:140]
	v_fma_f64 v[143:144], v[14:15], s[16:17], -v[133:134]
	v_fma_f64 v[133:134], v[14:15], s[16:17], v[133:134]
	v_fma_f64 v[145:146], v[14:15], s[18:19], -v[135:136]
	v_fma_f64 v[135:136], v[14:15], s[18:19], v[135:136]
	v_fma_f64 v[139:140], v[14:15], s[22:23], v[139:140]
	s_mov_b32 s37, 0x3fcea1e5
	s_mov_b32 s36, s4
	v_add_f64_e32 v[123:124], v[50:51], v[123:124]
	v_add_f64_e32 v[153:154], v[50:51], v[6:7]
	v_fma_f64 v[6:7], v[117:118], s[28:29], -v[54:55]
	v_add_f64_e32 v[155:156], v[50:51], v[60:61]
	v_fma_f64 v[54:55], v[117:118], s[28:29], v[54:55]
	v_add_f64_e32 v[60:61], v[50:51], v[62:63]
	v_add_f64_e32 v[125:126], v[50:51], v[125:126]
	;; [unrolled: 1-line block ×5, first 2 shown]
	v_fma_f64 v[141:142], v[14:15], s[14:15], -v[12:13]
	v_fma_f64 v[151:152], v[14:15], s[28:29], -v[10:11]
	v_fma_f64 v[12:13], v[14:15], s[14:15], v[12:13]
	v_fma_f64 v[10:11], v[14:15], s[28:29], v[10:11]
	v_add_f64_e32 v[14:15], v[50:51], v[121:122]
	v_add_f64_e32 v[62:63], v[48:49], v[137:138]
	;; [unrolled: 1-line block ×14, first 2 shown]
	v_fma_f64 v[4:5], v[115:116], s[28:29], v[52:53]
	v_mul_f64_e32 v[8:9], s[6:7], v[70:71]
	v_add_f64_e32 v[157:158], v[48:49], v[10:11]
	v_add_f64_e32 v[12:13], v[48:49], v[12:13]
	v_fma_f64 v[52:53], v[115:116], s[28:29], -v[52:53]
	v_add_f64_e32 v[6:7], v[6:7], v[121:122]
	v_add_f64_e32 v[4:5], v[4:5], v[14:15]
	v_fma_f64 v[10:11], v[107:108], s[16:17], v[8:9]
	v_fma_f64 v[8:9], v[107:108], s[16:17], -v[8:9]
	v_add_f64_e32 v[12:13], v[54:55], v[12:13]
	v_add_f64_e32 v[52:53], v[52:53], v[141:142]
	s_delay_alu instid0(VALU_DEP_4) | instskip(SKIP_1) | instid1(VALU_DEP_3)
	v_add_f64_e32 v[4:5], v[10:11], v[4:5]
	v_mul_f64_e32 v[10:11], s[6:7], v[105:106]
	v_add_f64_e32 v[8:9], v[8:9], v[52:53]
	v_mul_f64_e32 v[52:53], s[26:27], v[70:71]
	s_delay_alu instid0(VALU_DEP_3) | instskip(SKIP_1) | instid1(VALU_DEP_3)
	v_fma_f64 v[14:15], v[109:110], s[16:17], -v[10:11]
	v_fma_f64 v[10:11], v[109:110], s[16:17], v[10:11]
	v_fma_f64 v[54:55], v[107:108], s[22:23], v[52:53]
	v_fma_f64 v[52:53], v[107:108], s[22:23], -v[52:53]
	s_delay_alu instid0(VALU_DEP_4) | instskip(SKIP_2) | instid1(VALU_DEP_2)
	v_add_f64_e32 v[6:7], v[14:15], v[6:7]
	v_mul_f64_e32 v[14:15], s[34:35], v[103:104]
	v_add_f64_e32 v[10:11], v[10:11], v[12:13]
	v_fma_f64 v[48:49], v[68:69], s[22:23], v[14:15]
	v_fma_f64 v[12:13], v[68:69], s[22:23], -v[14:15]
	v_fma_f64 v[14:15], v[80:81], s[20:21], v[163:164]
	s_delay_alu instid0(VALU_DEP_3) | instskip(SKIP_1) | instid1(VALU_DEP_4)
	v_add_f64_e32 v[4:5], v[48:49], v[4:5]
	v_mul_f64_e32 v[48:49], s[34:35], v[66:67]
	v_add_f64_e32 v[8:9], v[12:13], v[8:9]
	s_delay_alu instid0(VALU_DEP_2) | instskip(SKIP_2) | instid1(VALU_DEP_3)
	v_fma_f64 v[50:51], v[64:65], s[22:23], -v[48:49]
	v_fma_f64 v[12:13], v[64:65], s[22:23], v[48:49]
	v_mul_f64_e32 v[48:49], s[30:31], v[111:112]
	v_add_f64_e32 v[6:7], v[50:51], v[6:7]
	v_mul_f64_e32 v[50:51], s[10:11], v[78:79]
	s_delay_alu instid0(VALU_DEP_4) | instskip(NEXT) | instid1(VALU_DEP_2)
	v_add_f64_e32 v[10:11], v[12:13], v[10:11]
	v_fma_f64 v[121:122], v[76:77], s[18:19], v[50:51]
	v_fma_f64 v[12:13], v[76:77], s[18:19], -v[50:51]
	v_mul_f64_e32 v[50:51], s[30:31], v[113:114]
	s_delay_alu instid0(VALU_DEP_3) | instskip(SKIP_1) | instid1(VALU_DEP_4)
	v_add_f64_e32 v[4:5], v[121:122], v[4:5]
	v_mul_f64_e32 v[121:122], s[10:11], v[74:75]
	v_add_f64_e32 v[8:9], v[12:13], v[8:9]
	s_delay_alu instid0(VALU_DEP_2) | instskip(SKIP_1) | instid1(VALU_DEP_2)
	v_fma_f64 v[12:13], v[72:73], s[18:19], v[121:122]
	v_fma_f64 v[159:160], v[72:73], s[18:19], -v[121:122]
	v_add_f64_e32 v[12:13], v[12:13], v[10:11]
	v_fma_f64 v[10:11], v[85:86], s[20:21], -v[161:162]
	s_delay_alu instid0(VALU_DEP_3) | instskip(SKIP_1) | instid1(VALU_DEP_3)
	v_add_f64_e32 v[159:160], v[159:160], v[6:7]
	v_fma_f64 v[6:7], v[85:86], s[20:21], v[161:162]
	v_add_f64_e32 v[10:11], v[10:11], v[8:9]
	v_add_f64_e32 v[8:9], v[14:15], v[12:13]
	v_fma_f64 v[12:13], v[115:116], s[20:21], v[48:49]
	v_fma_f64 v[14:15], v[117:118], s[20:21], -v[50:51]
	v_fma_f64 v[48:49], v[115:116], s[20:21], -v[48:49]
	v_fma_f64 v[50:51], v[117:118], s[20:21], v[50:51]
	v_add_f64_e32 v[6:7], v[6:7], v[4:5]
	v_fma_f64 v[4:5], v[80:81], s[20:21], -v[163:164]
	v_add_f64_e32 v[12:13], v[12:13], v[123:124]
	v_add_f64_e32 v[14:15], v[14:15], v[143:144]
	;; [unrolled: 1-line block ×4, first 2 shown]
	v_mul_f64_e32 v[143:144], s[10:11], v[87:88]
	v_add_f64_e32 v[4:5], v[4:5], v[159:160]
	v_mul_f64_e32 v[159:160], s[10:11], v[82:83]
	v_mul_f64_e32 v[133:134], s[24:25], v[66:67]
	;; [unrolled: 1-line block ×4, first 2 shown]
	v_add_f64_e32 v[12:13], v[54:55], v[12:13]
	v_mul_f64_e32 v[54:55], s[26:27], v[105:106]
	v_add_f64_e32 v[48:49], v[52:53], v[48:49]
	s_delay_alu instid0(VALU_DEP_2) | instskip(SKIP_2) | instid1(VALU_DEP_3)
	v_fma_f64 v[121:122], v[109:110], s[22:23], -v[54:55]
	v_fma_f64 v[52:53], v[109:110], s[22:23], v[54:55]
	v_fma_f64 v[54:55], v[80:81], s[18:19], v[159:160]
	v_add_f64_e32 v[14:15], v[121:122], v[14:15]
	s_wait_alu 0xfffe
	v_mul_f64_e32 v[121:122], s[36:37], v[103:104]
	s_delay_alu instid0(VALU_DEP_4) | instskip(NEXT) | instid1(VALU_DEP_2)
	v_add_f64_e32 v[50:51], v[52:53], v[50:51]
	v_fma_f64 v[123:124], v[68:69], s[14:15], v[121:122]
	v_fma_f64 v[52:53], v[68:69], s[14:15], -v[121:122]
	v_mul_f64_e32 v[121:122], s[38:39], v[111:112]
	s_delay_alu instid0(VALU_DEP_3) | instskip(SKIP_1) | instid1(VALU_DEP_4)
	v_add_f64_e32 v[12:13], v[123:124], v[12:13]
	v_mul_f64_e32 v[123:124], s[36:37], v[66:67]
	v_add_f64_e32 v[48:49], v[52:53], v[48:49]
	s_delay_alu instid0(VALU_DEP_2) | instskip(SKIP_2) | instid1(VALU_DEP_3)
	v_fma_f64 v[52:53], v[64:65], s[14:15], v[123:124]
	v_fma_f64 v[141:142], v[64:65], s[14:15], -v[123:124]
	v_mul_f64_e32 v[123:124], s[38:39], v[113:114]
	v_add_f64_e32 v[50:51], v[52:53], v[50:51]
	v_fma_f64 v[52:53], v[76:77], s[28:29], -v[56:57]
	s_delay_alu instid0(VALU_DEP_4)
	v_add_f64_e32 v[14:15], v[141:142], v[14:15]
	v_fma_f64 v[141:142], v[76:77], s[28:29], v[56:57]
	v_fma_f64 v[56:57], v[107:108], s[28:29], v[91:92]
	v_fma_f64 v[91:92], v[107:108], s[28:29], -v[91:92]
	v_add_f64_e32 v[48:49], v[52:53], v[48:49]
	v_fma_f64 v[52:53], v[72:73], s[28:29], v[58:59]
	v_add_f64_e32 v[12:13], v[141:142], v[12:13]
	v_fma_f64 v[141:142], v[72:73], s[28:29], -v[58:59]
	s_delay_alu instid0(VALU_DEP_3) | instskip(SKIP_1) | instid1(VALU_DEP_3)
	v_add_f64_e32 v[52:53], v[52:53], v[50:51]
	v_fma_f64 v[50:51], v[85:86], s[18:19], -v[143:144]
	v_add_f64_e32 v[141:142], v[141:142], v[14:15]
	v_fma_f64 v[14:15], v[85:86], s[18:19], v[143:144]
	v_mul_f64_e32 v[143:144], s[36:37], v[74:75]
	s_delay_alu instid0(VALU_DEP_4)
	v_add_f64_e32 v[50:51], v[50:51], v[48:49]
	v_add_f64_e32 v[48:49], v[54:55], v[52:53]
	v_fma_f64 v[52:53], v[115:116], s[16:17], v[121:122]
	v_fma_f64 v[54:55], v[117:118], s[16:17], -v[123:124]
	v_add_f64_e32 v[14:15], v[14:15], v[12:13]
	v_fma_f64 v[12:13], v[80:81], s[18:19], -v[159:160]
	v_mul_f64_e32 v[159:160], s[10:11], v[111:112]
	v_fma_f64 v[121:122], v[115:116], s[16:17], -v[121:122]
	v_fma_f64 v[123:124], v[117:118], s[16:17], v[123:124]
	v_add_f64_e32 v[52:53], v[52:53], v[125:126]
	v_add_f64_e32 v[54:55], v[54:55], v[145:146]
	v_mul_f64_e32 v[125:126], s[24:25], v[103:104]
	v_add_f64_e32 v[12:13], v[12:13], v[141:142]
	v_mul_f64_e32 v[141:142], s[36:37], v[78:79]
	v_mul_f64_e32 v[145:146], s[34:35], v[87:88]
	v_add_f64_e32 v[121:122], v[121:122], v[155:156]
	v_add_f64_e32 v[123:124], v[123:124], v[135:136]
	v_mul_f64_e32 v[87:88], s[4:5], v[87:88]
	v_add_f64_e32 v[52:53], v[56:57], v[52:53]
	v_fma_f64 v[56:57], v[109:110], s[28:29], -v[93:94]
	v_fma_f64 v[93:94], v[109:110], s[28:29], v[93:94]
	v_add_f64_e32 v[91:92], v[91:92], v[121:122]
	v_fma_f64 v[121:122], v[68:69], s[20:21], -v[125:126]
	s_delay_alu instid0(VALU_DEP_4)
	v_add_f64_e32 v[54:55], v[56:57], v[54:55]
	v_fma_f64 v[56:57], v[68:69], s[20:21], v[125:126]
	v_add_f64_e32 v[93:94], v[93:94], v[123:124]
	v_fma_f64 v[123:124], v[80:81], s[22:23], v[153:154]
	v_add_f64_e32 v[91:92], v[121:122], v[91:92]
	v_fma_f64 v[121:122], v[64:65], s[20:21], v[133:134]
	v_add_f64_e32 v[52:53], v[56:57], v[52:53]
	v_fma_f64 v[56:57], v[64:65], s[20:21], -v[133:134]
	s_delay_alu instid0(VALU_DEP_3) | instskip(SKIP_1) | instid1(VALU_DEP_3)
	v_add_f64_e32 v[93:94], v[121:122], v[93:94]
	v_fma_f64 v[121:122], v[76:77], s[14:15], -v[141:142]
	v_add_f64_e32 v[54:55], v[56:57], v[54:55]
	v_fma_f64 v[56:57], v[76:77], s[14:15], v[141:142]
	s_delay_alu instid0(VALU_DEP_3) | instskip(SKIP_1) | instid1(VALU_DEP_3)
	v_add_f64_e32 v[91:92], v[121:122], v[91:92]
	v_fma_f64 v[121:122], v[72:73], s[14:15], v[143:144]
	v_add_f64_e32 v[52:53], v[56:57], v[52:53]
	v_fma_f64 v[56:57], v[72:73], s[14:15], -v[143:144]
	s_delay_alu instid0(VALU_DEP_3) | instskip(SKIP_1) | instid1(VALU_DEP_3)
	v_add_f64_e32 v[121:122], v[121:122], v[93:94]
	v_fma_f64 v[93:94], v[85:86], s[22:23], -v[145:146]
	v_add_f64_e32 v[56:57], v[56:57], v[54:55]
	v_fma_f64 v[54:55], v[85:86], s[22:23], v[145:146]
	s_delay_alu instid0(VALU_DEP_3) | instskip(SKIP_1) | instid1(VALU_DEP_3)
	v_add_f64_e32 v[93:94], v[93:94], v[91:92]
	v_add_f64_e32 v[91:92], v[123:124], v[121:122]
	;; [unrolled: 1-line block ×3, first 2 shown]
	v_fma_f64 v[52:53], v[80:81], s[22:23], -v[153:154]
	s_delay_alu instid0(VALU_DEP_1) | instskip(SKIP_1) | instid1(VALU_DEP_1)
	v_add_f64_e32 v[52:53], v[52:53], v[56:57]
	v_fma_f64 v[56:57], v[115:116], s[18:19], -v[159:160]
	v_add_f64_e32 v[56:57], v[56:57], v[119:120]
	v_mul_f64_e32 v[119:120], s[10:11], v[113:114]
	s_delay_alu instid0(VALU_DEP_1) | instskip(SKIP_1) | instid1(VALU_DEP_2)
	v_fma_f64 v[58:59], v[117:118], s[18:19], v[119:120]
	v_fma_f64 v[119:120], v[117:118], s[18:19], -v[119:120]
	v_add_f64_e32 v[58:59], v[58:59], v[139:140]
	v_mul_f64_e32 v[139:140], s[4:5], v[70:71]
	s_delay_alu instid0(VALU_DEP_3) | instskip(NEXT) | instid1(VALU_DEP_2)
	v_add_f64_e32 v[119:120], v[119:120], v[137:138]
	v_fma_f64 v[161:162], v[107:108], s[14:15], -v[139:140]
	s_delay_alu instid0(VALU_DEP_1) | instskip(SKIP_1) | instid1(VALU_DEP_1)
	v_add_f64_e32 v[56:57], v[161:162], v[56:57]
	v_mul_f64_e32 v[161:162], s[4:5], v[105:106]
	v_fma_f64 v[163:164], v[109:110], s[14:15], v[161:162]
	s_delay_alu instid0(VALU_DEP_1) | instskip(SKIP_1) | instid1(VALU_DEP_1)
	v_add_f64_e32 v[58:59], v[163:164], v[58:59]
	v_mul_f64_e32 v[163:164], s[38:39], v[103:104]
	v_fma_f64 v[165:166], v[68:69], s[16:17], -v[163:164]
	s_delay_alu instid0(VALU_DEP_1) | instskip(SKIP_2) | instid1(VALU_DEP_2)
	v_add_f64_e32 v[56:57], v[165:166], v[56:57]
	v_mul_f64_e32 v[165:166], s[38:39], v[66:67]
	v_mul_f64_e32 v[66:67], s[10:11], v[66:67]
	v_fma_f64 v[167:168], v[64:65], s[16:17], v[165:166]
	s_delay_alu instid0(VALU_DEP_1) | instskip(SKIP_1) | instid1(VALU_DEP_1)
	v_add_f64_e32 v[58:59], v[167:168], v[58:59]
	v_mul_f64_e32 v[167:168], s[30:31], v[78:79]
	v_fma_f64 v[169:170], v[76:77], s[20:21], -v[167:168]
	s_delay_alu instid0(VALU_DEP_1) | instskip(SKIP_3) | instid1(VALU_DEP_1)
	v_add_f64_e32 v[56:57], v[169:170], v[56:57]
	v_mul_f64_e32 v[169:170], s[30:31], v[74:75]
	s_mov_b32 s31, 0x3fedeba7
	s_mov_b32 s30, s10
	v_fma_f64 v[171:172], v[72:73], s[20:21], v[169:170]
	s_delay_alu instid0(VALU_DEP_1) | instskip(SKIP_2) | instid1(VALU_DEP_2)
	v_add_f64_e32 v[171:172], v[171:172], v[58:59]
	v_fma_f64 v[58:59], v[85:86], s[28:29], -v[99:100]
	v_fma_f64 v[99:100], v[85:86], s[28:29], v[99:100]
	v_add_f64_e32 v[58:59], v[58:59], v[56:57]
	v_fma_f64 v[56:57], v[80:81], s[28:29], v[101:102]
	s_delay_alu instid0(VALU_DEP_1) | instskip(SKIP_2) | instid1(VALU_DEP_2)
	v_add_f64_e32 v[56:57], v[56:57], v[171:172]
	v_mul_f64_e32 v[171:172], s[4:5], v[111:112]
	v_mul_f64_e32 v[111:112], s[26:27], v[111:112]
	v_fma_f64 v[173:174], v[115:116], s[14:15], -v[171:172]
	v_fma_f64 v[121:122], v[115:116], s[14:15], v[171:172]
	s_delay_alu instid0(VALU_DEP_2) | instskip(SKIP_1) | instid1(VALU_DEP_3)
	v_add_f64_e32 v[60:61], v[173:174], v[60:61]
	v_mul_f64_e32 v[173:174], s[4:5], v[113:114]
	v_add_f64_e32 v[121:122], v[121:122], v[127:128]
	v_mul_f64_e32 v[113:114], s[26:27], v[113:114]
	s_delay_alu instid0(VALU_DEP_3) | instskip(SKIP_1) | instid1(VALU_DEP_2)
	v_fma_f64 v[175:176], v[117:118], s[14:15], v[173:174]
	v_fma_f64 v[123:124], v[117:118], s[14:15], -v[173:174]
	v_add_f64_e32 v[62:63], v[175:176], v[62:63]
	s_wait_alu 0xfffe
	v_mul_f64_e32 v[175:176], s[30:31], v[70:71]
	s_delay_alu instid0(VALU_DEP_3) | instskip(SKIP_1) | instid1(VALU_DEP_3)
	v_add_f64_e32 v[123:124], v[123:124], v[147:148]
	v_mul_f64_e32 v[70:71], s[24:25], v[70:71]
	v_fma_f64 v[177:178], v[107:108], s[18:19], -v[175:176]
	v_fma_f64 v[125:126], v[107:108], s[18:19], v[175:176]
	s_delay_alu instid0(VALU_DEP_2) | instskip(SKIP_1) | instid1(VALU_DEP_3)
	v_add_f64_e32 v[60:61], v[177:178], v[60:61]
	v_mul_f64_e32 v[177:178], s[30:31], v[105:106]
	v_add_f64_e32 v[121:122], v[125:126], v[121:122]
	s_delay_alu instid0(VALU_DEP_2) | instskip(SKIP_1) | instid1(VALU_DEP_2)
	v_fma_f64 v[179:180], v[109:110], s[18:19], v[177:178]
	v_fma_f64 v[125:126], v[109:110], s[18:19], -v[177:178]
	v_add_f64_e32 v[62:63], v[179:180], v[62:63]
	v_fma_f64 v[179:180], v[68:69], s[28:29], -v[95:96]
	v_fma_f64 v[95:96], v[68:69], s[28:29], v[95:96]
	s_delay_alu instid0(VALU_DEP_4) | instskip(NEXT) | instid1(VALU_DEP_3)
	v_add_f64_e32 v[123:124], v[125:126], v[123:124]
	v_add_f64_e32 v[60:61], v[179:180], v[60:61]
	v_fma_f64 v[179:180], v[64:65], s[28:29], v[97:98]
	s_delay_alu instid0(VALU_DEP_4) | instskip(SKIP_1) | instid1(VALU_DEP_3)
	v_add_f64_e32 v[95:96], v[95:96], v[121:122]
	v_fma_f64 v[97:98], v[64:65], s[28:29], -v[97:98]
	v_add_f64_e32 v[62:63], v[179:180], v[62:63]
	v_mul_f64_e32 v[179:180], s[26:27], v[78:79]
	s_delay_alu instid0(VALU_DEP_3) | instskip(SKIP_2) | instid1(VALU_DEP_4)
	v_add_f64_e32 v[97:98], v[97:98], v[123:124]
	v_fma_f64 v[123:124], v[80:81], s[16:17], -v[187:188]
	v_mul_f64_e32 v[78:79], s[6:7], v[78:79]
	v_fma_f64 v[181:182], v[76:77], s[22:23], -v[179:180]
	v_fma_f64 v[121:122], v[76:77], s[22:23], v[179:180]
	s_delay_alu instid0(VALU_DEP_2) | instskip(SKIP_1) | instid1(VALU_DEP_3)
	v_add_f64_e32 v[60:61], v[181:182], v[60:61]
	v_mul_f64_e32 v[181:182], s[26:27], v[74:75]
	v_add_f64_e32 v[95:96], v[121:122], v[95:96]
	v_mul_f64_e32 v[74:75], s[6:7], v[74:75]
	s_delay_alu instid0(VALU_DEP_3) | instskip(SKIP_1) | instid1(VALU_DEP_2)
	v_fma_f64 v[121:122], v[72:73], s[22:23], -v[181:182]
	v_fma_f64 v[183:184], v[72:73], s[22:23], v[181:182]
	v_add_f64_e32 v[121:122], v[121:122], v[97:98]
	v_fma_f64 v[97:98], v[85:86], s[16:17], v[185:186]
	s_delay_alu instid0(VALU_DEP_3) | instskip(SKIP_1) | instid1(VALU_DEP_3)
	v_add_f64_e32 v[183:184], v[183:184], v[62:63]
	v_fma_f64 v[62:63], v[85:86], s[16:17], -v[185:186]
	v_add_f64_e32 v[97:98], v[97:98], v[95:96]
	v_add_f64_e32 v[95:96], v[123:124], v[121:122]
	v_fma_f64 v[121:122], v[115:116], s[18:19], v[159:160]
	v_fma_f64 v[123:124], v[107:108], s[14:15], v[139:140]
	v_add_f64_e32 v[62:63], v[62:63], v[60:61]
	v_fma_f64 v[60:61], v[80:81], s[16:17], v[187:188]
	s_delay_alu instid0(VALU_DEP_4) | instskip(NEXT) | instid1(VALU_DEP_2)
	v_add_f64_e32 v[121:122], v[121:122], v[129:130]
	v_add_f64_e32 v[60:61], v[60:61], v[183:184]
	s_delay_alu instid0(VALU_DEP_2) | instskip(SKIP_1) | instid1(VALU_DEP_1)
	v_add_f64_e32 v[121:122], v[123:124], v[121:122]
	v_fma_f64 v[123:124], v[109:110], s[14:15], -v[161:162]
	v_add_f64_e32 v[119:120], v[123:124], v[119:120]
	v_fma_f64 v[123:124], v[68:69], s[16:17], v[163:164]
	s_delay_alu instid0(VALU_DEP_1) | instskip(SKIP_1) | instid1(VALU_DEP_1)
	v_add_f64_e32 v[121:122], v[123:124], v[121:122]
	v_fma_f64 v[123:124], v[64:65], s[16:17], -v[165:166]
	v_add_f64_e32 v[119:120], v[123:124], v[119:120]
	v_fma_f64 v[123:124], v[76:77], s[20:21], v[167:168]
	s_delay_alu instid0(VALU_DEP_1) | instskip(SKIP_1) | instid1(VALU_DEP_1)
	v_add_f64_e32 v[121:122], v[123:124], v[121:122]
	v_fma_f64 v[123:124], v[72:73], s[20:21], -v[169:170]
	v_add_f64_e32 v[119:120], v[123:124], v[119:120]
	v_fma_f64 v[123:124], v[80:81], s[28:29], -v[101:102]
	s_delay_alu instid0(VALU_DEP_4) | instskip(SKIP_2) | instid1(VALU_DEP_4)
	v_add_f64_e32 v[101:102], v[99:100], v[121:122]
	v_fma_f64 v[121:122], v[117:118], s[22:23], v[113:114]
	v_fma_f64 v[113:114], v[117:118], s[22:23], -v[113:114]
	v_add_f64_e32 v[99:100], v[123:124], v[119:120]
	v_fma_f64 v[119:120], v[115:116], s[22:23], -v[111:112]
	v_fma_f64 v[123:124], v[107:108], s[20:21], -v[70:71]
	v_add_f64_e32 v[121:122], v[121:122], v[157:158]
	v_fma_f64 v[111:112], v[115:116], s[22:23], v[111:112]
	v_fma_f64 v[70:71], v[107:108], s[20:21], v[70:71]
	v_add_f64_e32 v[119:120], v[119:120], v[151:152]
	s_delay_alu instid0(VALU_DEP_3) | instskip(SKIP_1) | instid1(VALU_DEP_3)
	v_add_f64_e32 v[107:108], v[111:112], v[131:132]
	v_add_f64_e32 v[111:112], v[113:114], v[149:150]
	;; [unrolled: 1-line block ×3, first 2 shown]
	v_mul_f64_e32 v[123:124], s[24:25], v[105:106]
	s_delay_alu instid0(VALU_DEP_4) | instskip(NEXT) | instid1(VALU_DEP_2)
	v_add_f64_e32 v[70:71], v[70:71], v[107:108]
	v_fma_f64 v[105:106], v[109:110], s[20:21], v[123:124]
	v_fma_f64 v[109:110], v[109:110], s[20:21], -v[123:124]
	s_delay_alu instid0(VALU_DEP_2) | instskip(SKIP_1) | instid1(VALU_DEP_1)
	v_add_f64_e32 v[105:106], v[105:106], v[121:122]
	v_mul_f64_e32 v[121:122], s[10:11], v[103:104]
	v_fma_f64 v[103:104], v[68:69], s[18:19], -v[121:122]
	v_fma_f64 v[68:69], v[68:69], s[18:19], v[121:122]
	s_delay_alu instid0(VALU_DEP_2)
	v_add_f64_e32 v[103:104], v[103:104], v[119:120]
	v_fma_f64 v[119:120], v[64:65], s[18:19], v[66:67]
	v_fma_f64 v[64:65], v[64:65], s[18:19], -v[66:67]
	v_add_f64_e32 v[66:67], v[109:110], v[111:112]
	v_add_f64_e32 v[68:69], v[68:69], v[70:71]
	v_fma_f64 v[70:71], v[72:73], s[16:17], -v[74:75]
	v_add_f64_e32 v[105:106], v[119:120], v[105:106]
	v_fma_f64 v[119:120], v[76:77], s[16:17], -v[78:79]
	v_fma_f64 v[76:77], v[76:77], s[16:17], v[78:79]
	v_add_f64_e32 v[64:65], v[64:65], v[66:67]
	v_fma_f64 v[66:67], v[85:86], s[14:15], v[87:88]
	s_delay_alu instid0(VALU_DEP_4) | instskip(SKIP_4) | instid1(VALU_DEP_4)
	v_add_f64_e32 v[103:104], v[119:120], v[103:104]
	v_fma_f64 v[119:120], v[72:73], s[16:17], v[74:75]
	v_add_f64_e32 v[68:69], v[76:77], v[68:69]
	v_fma_f64 v[72:73], v[80:81], s[14:15], -v[82:83]
	v_add_f64_e32 v[64:65], v[70:71], v[64:65]
	v_add_f64_e32 v[119:120], v[119:120], v[105:106]
	v_fma_f64 v[105:106], v[85:86], s[14:15], -v[87:88]
	v_add_f64_e32 v[66:67], v[66:67], v[68:69]
	s_delay_alu instid0(VALU_DEP_4) | instskip(SKIP_1) | instid1(VALU_DEP_1)
	v_add_f64_e32 v[64:65], v[72:73], v[64:65]
	v_and_b32_e32 v68, 0xffff, v217
	v_lshl_add_u32 v68, v68, 4, v216
	v_add_f64_e32 v[105:106], v[105:106], v[103:104]
	v_fma_f64 v[103:104], v[80:81], s[14:15], v[82:83]
	s_delay_alu instid0(VALU_DEP_1)
	v_add_f64_e32 v[103:104], v[103:104], v[119:120]
	ds_store_b128 v68, v[56:59] offset:32
	ds_store_b128 v68, v[60:63] offset:48
	;; [unrolled: 1-line block ×11, first 2 shown]
	ds_store_b128 v68, v[0:3]
	ds_store_b128 v68, v[64:67] offset:192
.LBB0_13:
	s_or_b32 exec_lo, exec_lo, s33
	global_wb scope:SCOPE_SE
	s_wait_dscnt 0x0
	s_barrier_signal -1
	s_barrier_wait -1
	global_inv scope:SCOPE_SE
	ds_load_b128 v[0:3], v90 offset:208
	ds_load_b128 v[4:7], v90 offset:1664
	;; [unrolled: 1-line block ×7, first 2 shown]
	s_mov_b32 s4, 0x8c811c17
	s_mov_b32 s10, 0xa2cf5039
	;; [unrolled: 1-line block ×8, first 2 shown]
	s_wait_dscnt 0x6
	v_mul_f64_e32 v[60:61], v[26:27], v[2:3]
	v_mul_f64_e32 v[26:27], v[26:27], v[0:1]
	s_wait_dscnt 0x5
	v_mul_f64_e32 v[62:63], v[38:39], v[6:7]
	v_mul_f64_e32 v[38:39], v[38:39], v[4:5]
	;; [unrolled: 3-line block ×3, first 2 shown]
	s_wait_dscnt 0x3
	v_mul_f64_e32 v[66:67], v[30:31], v[14:15]
	s_wait_dscnt 0x2
	v_mul_f64_e32 v[68:69], v[46:47], v[50:51]
	v_mul_f64_e32 v[30:31], v[30:31], v[12:13]
	;; [unrolled: 1-line block ×3, first 2 shown]
	s_wait_dscnt 0x1
	v_mul_f64_e32 v[70:71], v[42:43], v[54:55]
	v_mul_f64_e32 v[42:43], v[42:43], v[52:53]
	v_fma_f64 v[60:61], v[24:25], v[0:1], v[60:61]
	v_fma_f64 v[24:25], v[24:25], v[2:3], -v[26:27]
	v_fma_f64 v[4:5], v[36:37], v[4:5], v[62:63]
	v_fma_f64 v[6:7], v[36:37], v[6:7], -v[38:39]
	;; [unrolled: 2-line block ×3, first 2 shown]
	v_fma_f64 v[12:13], v[28:29], v[12:13], v[66:67]
	v_fma_f64 v[26:27], v[44:45], v[48:49], v[68:69]
	v_fma_f64 v[14:15], v[28:29], v[14:15], -v[30:31]
	v_fma_f64 v[28:29], v[44:45], v[50:51], -v[46:47]
	v_fma_f64 v[30:31], v[40:41], v[52:53], v[70:71]
	v_fma_f64 v[32:33], v[40:41], v[54:55], -v[42:43]
	ds_load_b128 v[0:3], v90 offset:1248
	s_wait_dscnt 0x1
	v_mul_f64_e32 v[34:35], v[22:23], v[58:59]
	v_mul_f64_e32 v[22:23], v[22:23], v[56:57]
	v_add_f64_e64 v[38:39], v[60:61], -v[4:5]
	v_add_f64_e64 v[40:41], v[24:25], -v[6:7]
	v_add_f64_e32 v[42:43], v[60:61], v[4:5]
	v_add_f64_e32 v[24:25], v[24:25], v[6:7]
	ds_load_b128 v[4:7], v90
	s_wait_dscnt 0x1
	v_mul_f64_e32 v[36:37], v[18:19], v[2:3]
	v_mul_f64_e32 v[18:19], v[18:19], v[0:1]
	v_add_f64_e32 v[44:45], v[12:13], v[26:27]
	v_add_f64_e64 v[46:47], v[12:13], -v[26:27]
	v_add_f64_e64 v[48:49], v[14:15], -v[28:29]
	v_add_f64_e32 v[50:51], v[8:9], v[30:31]
	v_add_f64_e32 v[52:53], v[10:11], v[32:33]
	;; [unrolled: 1-line block ×3, first 2 shown]
	v_fma_f64 v[34:35], v[20:21], v[56:57], v[34:35]
	v_fma_f64 v[20:21], v[20:21], v[58:59], -v[22:23]
	v_add_f64_e64 v[8:9], v[8:9], -v[30:31]
	v_add_f64_e64 v[10:11], v[10:11], -v[32:33]
	s_wait_dscnt 0x0
	s_wait_alu 0xfffe
	v_fma_f64 v[22:23], v[42:43], s[10:11], v[4:5]
	v_fma_f64 v[30:31], v[24:25], s[10:11], v[6:7]
	;; [unrolled: 1-line block ×3, first 2 shown]
	v_fma_f64 v[2:3], v[16:17], v[2:3], -v[18:19]
	v_mul_f64_e32 v[16:17], s[6:7], v[38:39]
	v_mul_f64_e32 v[18:19], s[6:7], v[40:41]
	v_fma_f64 v[32:33], v[44:45], s[10:11], v[4:5]
	v_mul_f64_e32 v[36:37], s[4:5], v[46:47]
	v_mul_f64_e32 v[56:57], s[4:5], v[48:49]
	v_fma_f64 v[58:59], v[50:51], s[10:11], v[4:5]
	v_fma_f64 v[60:61], v[52:53], s[10:11], v[6:7]
	s_mov_b32 s7, 0xbfe491b7
	v_fma_f64 v[62:63], v[54:55], s[10:11], v[6:7]
	s_wait_alu 0xfffe
	v_mul_f64_e32 v[64:65], s[6:7], v[48:49]
	v_mul_f64_e32 v[66:67], s[6:7], v[46:47]
	v_add_f64_e32 v[72:73], v[50:51], v[42:43]
	v_add_f64_e32 v[74:75], v[52:53], v[24:25]
	s_mov_b32 s10, 0x7e0b738b
	s_mov_b32 s11, 0x3fc63a1a
	v_add_f64_e32 v[68:69], v[34:35], v[0:1]
	v_add_f64_e32 v[70:71], v[20:21], v[2:3]
	v_add_f64_e64 v[0:1], v[34:35], -v[0:1]
	v_add_f64_e64 v[2:3], v[20:21], -v[2:3]
	v_fma_f64 v[16:17], v[8:9], s[4:5], v[16:17]
	v_fma_f64 v[18:19], v[10:11], s[4:5], v[18:19]
	s_wait_alu 0xfffe
	v_fma_f64 v[20:21], v[50:51], s[10:11], v[22:23]
	v_fma_f64 v[22:23], v[52:53], s[10:11], v[30:31]
	;; [unrolled: 1-line block ×3, first 2 shown]
	v_fma_f64 v[32:33], v[8:9], s[6:7], -v[36:37]
	v_fma_f64 v[34:35], v[10:11], s[6:7], -v[56:57]
	v_fma_f64 v[36:37], v[44:45], s[10:11], v[58:59]
	v_fma_f64 v[56:57], v[54:55], s[10:11], v[60:61]
	;; [unrolled: 1-line block ×5, first 2 shown]
	v_add_f64_e32 v[80:81], v[44:45], v[72:73]
	v_add_f64_e32 v[82:83], v[54:55], v[74:75]
	s_mov_b32 s4, 0xe8584cab
	s_mov_b32 s5, 0x3febb67a
	;; [unrolled: 1-line block ×3, first 2 shown]
	s_wait_alu 0xfffe
	s_mov_b32 s6, s4
	v_add_f64_e32 v[64:65], v[46:47], v[38:39]
	v_add_f64_e32 v[66:67], v[48:49], v[40:41]
	s_mov_b32 s10, 0x748a0bf8
	s_mov_b32 s11, 0x3fd5e3a8
	v_add_f64_e32 v[72:73], v[68:69], v[72:73]
	v_add_f64_e32 v[74:75], v[70:71], v[74:75]
	;; [unrolled: 1-line block ×4, first 2 shown]
	v_fma_f64 v[16:17], v[0:1], s[4:5], v[16:17]
	v_fma_f64 v[18:19], v[2:3], s[4:5], v[18:19]
	v_fma_f64 v[20:21], v[68:69], -0.5, v[20:21]
	v_fma_f64 v[22:23], v[70:71], -0.5, v[22:23]
	;; [unrolled: 1-line block ×3, first 2 shown]
	v_fma_f64 v[32:33], v[0:1], s[4:5], v[32:33]
	v_fma_f64 v[34:35], v[2:3], s[4:5], v[34:35]
	v_fma_f64 v[36:37], v[68:69], -0.5, v[36:37]
	v_fma_f64 v[56:57], v[70:71], -0.5, v[56:57]
	;; [unrolled: 1-line block ×3, first 2 shown]
	s_wait_alu 0xfffe
	v_fma_f64 v[2:3], v[2:3], s[6:7], v[60:61]
	v_fma_f64 v[0:1], v[0:1], s[6:7], v[62:63]
	v_add_f64_e64 v[60:61], v[64:65], -v[8:9]
	v_add_f64_e64 v[62:63], v[66:67], -v[10:11]
	v_add_f64_e32 v[12:13], v[12:13], v[72:73]
	v_add_f64_e32 v[14:15], v[14:15], v[74:75]
	v_fma_f64 v[64:65], v[80:81], -0.5, v[76:77]
	v_fma_f64 v[66:67], v[82:83], -0.5, v[78:79]
	v_fma_f64 v[46:47], v[46:47], s[10:11], v[16:17]
	v_fma_f64 v[48:49], v[48:49], s[10:11], v[18:19]
	;; [unrolled: 1-line block ×12, first 2 shown]
	v_mul_f64_e32 v[40:41], s[4:5], v[60:61]
	v_mul_f64_e32 v[42:43], s[4:5], v[62:63]
	v_add_f64_e32 v[26:27], v[26:27], v[12:13]
	v_add_f64_e32 v[28:29], v[28:29], v[14:15]
	v_fma_f64 v[0:1], v[62:63], s[6:7], v[64:65]
	v_fma_f64 v[2:3], v[60:61], s[4:5], v[66:67]
	v_add_f64_e64 v[8:9], v[16:17], -v[48:49]
	v_add_f64_e32 v[10:11], v[46:47], v[18:19]
	v_add_f64_e64 v[12:13], v[22:23], -v[32:33]
	v_add_f64_e32 v[14:15], v[30:31], v[24:25]
	;; [unrolled: 2-line block ×3, first 2 shown]
	v_add_f64_e32 v[4:5], v[4:5], v[26:27]
	v_add_f64_e32 v[6:7], v[6:7], v[28:29]
	v_fma_f64 v[20:21], v[42:43], 2.0, v[0:1]
	v_fma_f64 v[22:23], v[40:41], -2.0, v[2:3]
	v_fma_f64 v[24:25], v[48:49], 2.0, v[8:9]
	v_fma_f64 v[26:27], v[46:47], -2.0, v[10:11]
	;; [unrolled: 2-line block ×4, first 2 shown]
	ds_store_b128 v89, v[4:7]
	ds_store_b128 v89, v[8:11] offset:208
	ds_store_b128 v89, v[16:19] offset:416
	;; [unrolled: 1-line block ×8, first 2 shown]
	global_wb scope:SCOPE_SE
	s_wait_dscnt 0x0
	s_barrier_signal -1
	s_barrier_wait -1
	global_inv scope:SCOPE_SE
	s_and_b32 exec_lo, exec_lo, vcc_lo
	s_cbranch_execz .LBB0_15
; %bb.14:
	s_clause 0xb
	global_load_b128 v[0:3], v213, s[8:9]
	global_load_b128 v[4:7], v213, s[8:9] offset:144
	global_load_b128 v[8:11], v213, s[8:9] offset:288
	;; [unrolled: 1-line block ×11, first 2 shown]
	v_mad_co_u64_u32 v[80:81], null, s2, v84, 0
	v_mad_co_u64_u32 v[96:97], null, s0, v214, 0
	v_lshl_add_u32 v126, v215, 4, v213
	s_delay_alu instid0(VALU_DEP_3) | instskip(NEXT) | instid1(VALU_DEP_3)
	v_mov_b32_e32 v48, v81
	v_mov_b32_e32 v56, v97
	s_delay_alu instid0(VALU_DEP_2)
	v_mad_co_u64_u32 v[64:65], null, s3, v84, v[48:49]
	ds_load_b128 v[48:51], v89
	ds_load_b128 v[52:55], v126 offset:144
	v_mad_co_u64_u32 v[82:83], null, s1, v214, v[56:57]
	ds_load_b128 v[56:59], v126 offset:288
	ds_load_b128 v[60:63], v126 offset:432
	s_mul_u64 s[0:1], s[0:1], 0x90
	s_mov_b32 s2, 0x11811812
	v_mov_b32_e32 v81, v64
	ds_load_b128 v[64:67], v126 offset:576
	ds_load_b128 v[68:71], v126 offset:720
	;; [unrolled: 1-line block ×4, first 2 shown]
	s_mov_b32 s3, 0x3f818118
	v_mov_b32_e32 v97, v82
	v_lshlrev_b64_e32 v[98:99], 4, v[80:81]
	ds_load_b128 v[80:83], v126 offset:1152
	ds_load_b128 v[84:87], v126 offset:1296
	;; [unrolled: 1-line block ×4, first 2 shown]
	v_lshlrev_b64_e32 v[96:97], 4, v[96:97]
	v_add_co_u32 v122, vcc_lo, s12, v98
	v_add_co_ci_u32_e32 v123, vcc_lo, s13, v99, vcc_lo
	s_delay_alu instid0(VALU_DEP_2) | instskip(SKIP_1) | instid1(VALU_DEP_2)
	v_add_co_u32 v96, vcc_lo, v122, v96
	s_wait_alu 0xfffd
	v_add_co_ci_u32_e32 v97, vcc_lo, v123, v97, vcc_lo
	s_wait_alu 0xfffe
	s_delay_alu instid0(VALU_DEP_2) | instskip(SKIP_1) | instid1(VALU_DEP_2)
	v_add_co_u32 v122, vcc_lo, v96, s0
	s_wait_alu 0xfffd
	v_add_co_ci_u32_e32 v123, vcc_lo, s1, v97, vcc_lo
	s_delay_alu instid0(VALU_DEP_2) | instskip(SKIP_1) | instid1(VALU_DEP_2)
	v_add_co_u32 v124, vcc_lo, v122, s0
	s_wait_alu 0xfffd
	v_add_co_ci_u32_e32 v125, vcc_lo, s1, v123, vcc_lo
	s_wait_loadcnt_dscnt 0xb0b
	v_mul_f64_e32 v[98:99], v[50:51], v[2:3]
	v_mul_f64_e32 v[2:3], v[48:49], v[2:3]
	s_wait_loadcnt_dscnt 0xa0a
	v_mul_f64_e32 v[100:101], v[54:55], v[6:7]
	v_mul_f64_e32 v[6:7], v[52:53], v[6:7]
	;; [unrolled: 3-line block ×12, first 2 shown]
	v_fma_f64 v[48:49], v[48:49], v[0:1], v[98:99]
	v_fma_f64 v[2:3], v[0:1], v[50:51], -v[2:3]
	v_fma_f64 v[50:51], v[52:53], v[4:5], v[100:101]
	v_fma_f64 v[6:7], v[4:5], v[54:55], -v[6:7]
	;; [unrolled: 2-line block ×12, first 2 shown]
	v_add_co_u32 v72, vcc_lo, v124, s0
	s_wait_alu 0xfffd
	v_add_co_ci_u32_e32 v73, vcc_lo, s1, v125, vcc_lo
	s_delay_alu instid0(VALU_DEP_2) | instskip(SKIP_1) | instid1(VALU_DEP_2)
	v_add_co_u32 v74, vcc_lo, v72, s0
	s_wait_alu 0xfffd
	v_add_co_ci_u32_e32 v75, vcc_lo, s1, v73, vcc_lo
	s_delay_alu instid0(VALU_DEP_2) | instskip(SKIP_1) | instid1(VALU_DEP_2)
	v_add_co_u32 v76, vcc_lo, v74, s0
	s_wait_alu 0xfffd
	v_add_co_ci_u32_e32 v77, vcc_lo, s1, v75, vcc_lo
	v_mul_f64_e32 v[0:1], s[2:3], v[48:49]
	v_mul_f64_e32 v[2:3], s[2:3], v[2:3]
	;; [unrolled: 1-line block ×24, first 2 shown]
	v_add_co_u32 v48, vcc_lo, v76, s0
	s_wait_alu 0xfffd
	v_add_co_ci_u32_e32 v49, vcc_lo, s1, v77, vcc_lo
	s_delay_alu instid0(VALU_DEP_2) | instskip(SKIP_1) | instid1(VALU_DEP_2)
	v_add_co_u32 v50, vcc_lo, v48, s0
	s_wait_alu 0xfffd
	v_add_co_ci_u32_e32 v51, vcc_lo, s1, v49, vcc_lo
	s_delay_alu instid0(VALU_DEP_2) | instskip(SKIP_1) | instid1(VALU_DEP_2)
	;; [unrolled: 4-line block ×5, first 2 shown]
	v_add_co_u32 v58, vcc_lo, v56, s0
	s_wait_alu 0xfffd
	v_add_co_ci_u32_e32 v59, vcc_lo, s1, v57, vcc_lo
	s_clause 0x4
	global_store_b128 v[96:97], v[0:3], off
	global_store_b128 v[122:123], v[4:7], off
	;; [unrolled: 1-line block ×12, first 2 shown]
	global_load_b128 v[0:3], v213, s[8:9] offset:1728
	ds_load_b128 v[4:7], v126 offset:1728
	s_wait_loadcnt_dscnt 0x0
	v_mul_f64_e32 v[8:9], v[6:7], v[2:3]
	v_mul_f64_e32 v[2:3], v[4:5], v[2:3]
	s_delay_alu instid0(VALU_DEP_2) | instskip(NEXT) | instid1(VALU_DEP_2)
	v_fma_f64 v[4:5], v[4:5], v[0:1], v[8:9]
	v_fma_f64 v[2:3], v[0:1], v[6:7], -v[2:3]
	s_delay_alu instid0(VALU_DEP_2) | instskip(NEXT) | instid1(VALU_DEP_2)
	v_mul_f64_e32 v[0:1], s[2:3], v[4:5]
	v_mul_f64_e32 v[2:3], s[2:3], v[2:3]
	v_add_co_u32 v4, vcc_lo, v58, s0
	s_wait_alu 0xfffd
	v_add_co_ci_u32_e32 v5, vcc_lo, s1, v59, vcc_lo
	global_store_b128 v[4:5], v[0:3], off
.LBB0_15:
	s_nop 0
	s_sendmsg sendmsg(MSG_DEALLOC_VGPRS)
	s_endpgm
	.section	.rodata,"a",@progbits
	.p2align	6, 0x0
	.amdhsa_kernel bluestein_single_back_len117_dim1_dp_op_CI_CI
		.amdhsa_group_segment_fixed_size 7488
		.amdhsa_private_segment_fixed_size 0
		.amdhsa_kernarg_size 104
		.amdhsa_user_sgpr_count 2
		.amdhsa_user_sgpr_dispatch_ptr 0
		.amdhsa_user_sgpr_queue_ptr 0
		.amdhsa_user_sgpr_kernarg_segment_ptr 1
		.amdhsa_user_sgpr_dispatch_id 0
		.amdhsa_user_sgpr_private_segment_size 0
		.amdhsa_wavefront_size32 1
		.amdhsa_uses_dynamic_stack 0
		.amdhsa_enable_private_segment 0
		.amdhsa_system_sgpr_workgroup_id_x 1
		.amdhsa_system_sgpr_workgroup_id_y 0
		.amdhsa_system_sgpr_workgroup_id_z 0
		.amdhsa_system_sgpr_workgroup_info 0
		.amdhsa_system_vgpr_workitem_id 0
		.amdhsa_next_free_vgpr 256
		.amdhsa_next_free_sgpr 46
		.amdhsa_reserve_vcc 1
		.amdhsa_float_round_mode_32 0
		.amdhsa_float_round_mode_16_64 0
		.amdhsa_float_denorm_mode_32 3
		.amdhsa_float_denorm_mode_16_64 3
		.amdhsa_fp16_overflow 0
		.amdhsa_workgroup_processor_mode 1
		.amdhsa_memory_ordered 1
		.amdhsa_forward_progress 0
		.amdhsa_round_robin_scheduling 0
		.amdhsa_exception_fp_ieee_invalid_op 0
		.amdhsa_exception_fp_denorm_src 0
		.amdhsa_exception_fp_ieee_div_zero 0
		.amdhsa_exception_fp_ieee_overflow 0
		.amdhsa_exception_fp_ieee_underflow 0
		.amdhsa_exception_fp_ieee_inexact 0
		.amdhsa_exception_int_div_zero 0
	.end_amdhsa_kernel
	.text
.Lfunc_end0:
	.size	bluestein_single_back_len117_dim1_dp_op_CI_CI, .Lfunc_end0-bluestein_single_back_len117_dim1_dp_op_CI_CI
                                        ; -- End function
	.section	.AMDGPU.csdata,"",@progbits
; Kernel info:
; codeLenInByte = 12144
; NumSgprs: 48
; NumVgprs: 256
; ScratchSize: 0
; MemoryBound: 0
; FloatMode: 240
; IeeeMode: 1
; LDSByteSize: 7488 bytes/workgroup (compile time only)
; SGPRBlocks: 5
; VGPRBlocks: 31
; NumSGPRsForWavesPerEU: 48
; NumVGPRsForWavesPerEU: 256
; Occupancy: 5
; WaveLimiterHint : 1
; COMPUTE_PGM_RSRC2:SCRATCH_EN: 0
; COMPUTE_PGM_RSRC2:USER_SGPR: 2
; COMPUTE_PGM_RSRC2:TRAP_HANDLER: 0
; COMPUTE_PGM_RSRC2:TGID_X_EN: 1
; COMPUTE_PGM_RSRC2:TGID_Y_EN: 0
; COMPUTE_PGM_RSRC2:TGID_Z_EN: 0
; COMPUTE_PGM_RSRC2:TIDIG_COMP_CNT: 0
	.text
	.p2alignl 7, 3214868480
	.fill 96, 4, 3214868480
	.type	__hip_cuid_3ad95a042343240b,@object ; @__hip_cuid_3ad95a042343240b
	.section	.bss,"aw",@nobits
	.globl	__hip_cuid_3ad95a042343240b
__hip_cuid_3ad95a042343240b:
	.byte	0                               ; 0x0
	.size	__hip_cuid_3ad95a042343240b, 1

	.ident	"AMD clang version 19.0.0git (https://github.com/RadeonOpenCompute/llvm-project roc-6.4.0 25133 c7fe45cf4b819c5991fe208aaa96edf142730f1d)"
	.section	".note.GNU-stack","",@progbits
	.addrsig
	.addrsig_sym __hip_cuid_3ad95a042343240b
	.amdgpu_metadata
---
amdhsa.kernels:
  - .args:
      - .actual_access:  read_only
        .address_space:  global
        .offset:         0
        .size:           8
        .value_kind:     global_buffer
      - .actual_access:  read_only
        .address_space:  global
        .offset:         8
        .size:           8
        .value_kind:     global_buffer
      - .actual_access:  read_only
        .address_space:  global
        .offset:         16
        .size:           8
        .value_kind:     global_buffer
      - .actual_access:  read_only
        .address_space:  global
        .offset:         24
        .size:           8
        .value_kind:     global_buffer
      - .actual_access:  read_only
        .address_space:  global
        .offset:         32
        .size:           8
        .value_kind:     global_buffer
      - .offset:         40
        .size:           8
        .value_kind:     by_value
      - .address_space:  global
        .offset:         48
        .size:           8
        .value_kind:     global_buffer
      - .address_space:  global
        .offset:         56
        .size:           8
        .value_kind:     global_buffer
      - .address_space:  global
        .offset:         64
        .size:           8
        .value_kind:     global_buffer
      - .address_space:  global
        .offset:         72
        .size:           8
        .value_kind:     global_buffer
      - .offset:         80
        .size:           4
        .value_kind:     by_value
      - .address_space:  global
        .offset:         88
        .size:           8
        .value_kind:     global_buffer
      - .address_space:  global
        .offset:         96
        .size:           8
        .value_kind:     global_buffer
    .group_segment_fixed_size: 7488
    .kernarg_segment_align: 8
    .kernarg_segment_size: 104
    .language:       OpenCL C
    .language_version:
      - 2
      - 0
    .max_flat_workgroup_size: 52
    .name:           bluestein_single_back_len117_dim1_dp_op_CI_CI
    .private_segment_fixed_size: 0
    .sgpr_count:     48
    .sgpr_spill_count: 0
    .symbol:         bluestein_single_back_len117_dim1_dp_op_CI_CI.kd
    .uniform_work_group_size: 1
    .uses_dynamic_stack: false
    .vgpr_count:     256
    .vgpr_spill_count: 0
    .wavefront_size: 32
    .workgroup_processor_mode: 1
amdhsa.target:   amdgcn-amd-amdhsa--gfx1201
amdhsa.version:
  - 1
  - 2
...

	.end_amdgpu_metadata
